;; amdgpu-corpus repo=ROCm/rocFFT kind=compiled arch=gfx1100 opt=O3
	.text
	.amdgcn_target "amdgcn-amd-amdhsa--gfx1100"
	.amdhsa_code_object_version 6
	.protected	fft_rtc_back_len2700_factors_3_10_10_3_3_wgs_90_tpt_90_halfLds_dp_op_CI_CI_sbrr_dirReg ; -- Begin function fft_rtc_back_len2700_factors_3_10_10_3_3_wgs_90_tpt_90_halfLds_dp_op_CI_CI_sbrr_dirReg
	.globl	fft_rtc_back_len2700_factors_3_10_10_3_3_wgs_90_tpt_90_halfLds_dp_op_CI_CI_sbrr_dirReg
	.p2align	8
	.type	fft_rtc_back_len2700_factors_3_10_10_3_3_wgs_90_tpt_90_halfLds_dp_op_CI_CI_sbrr_dirReg,@function
fft_rtc_back_len2700_factors_3_10_10_3_3_wgs_90_tpt_90_halfLds_dp_op_CI_CI_sbrr_dirReg: ; @fft_rtc_back_len2700_factors_3_10_10_3_3_wgs_90_tpt_90_halfLds_dp_op_CI_CI_sbrr_dirReg
; %bb.0:
	s_clause 0x2
	s_load_b128 s[16:19], s[0:1], 0x18
	s_load_b128 s[8:11], s[0:1], 0x0
	;; [unrolled: 1-line block ×3, first 2 shown]
	v_mul_u32_u24_e32 v1, 0x2d9, v0
	v_mov_b32_e32 v4, 0
	v_mov_b32_e32 v5, 0
	s_waitcnt lgkmcnt(0)
	s_load_b64 s[20:21], s[16:17], 0x0
	s_load_b64 s[12:13], s[18:19], 0x0
	v_lshrrev_b32_e32 v2, 16, v1
	v_mov_b32_e32 v1, 0
	v_cmp_lt_u64_e64 s2, s[10:11], 2
	s_delay_alu instid0(VALU_DEP_2) | instskip(NEXT) | instid1(VALU_DEP_2)
	v_dual_mov_b32 v7, v1 :: v_dual_add_nc_u32 v6, s15, v2
	s_and_b32 vcc_lo, exec_lo, s2
	s_cbranch_vccnz .LBB0_8
; %bb.1:
	s_load_b64 s[2:3], s[0:1], 0x10
	v_mov_b32_e32 v4, 0
	v_mov_b32_e32 v5, 0
	s_add_u32 s14, s18, 8
	s_addc_u32 s15, s19, 0
	s_add_u32 s22, s16, 8
	s_addc_u32 s23, s17, 0
	v_dual_mov_b32 v161, v5 :: v_dual_mov_b32 v160, v4
	s_mov_b64 s[26:27], 1
	s_waitcnt lgkmcnt(0)
	s_add_u32 s24, s2, 8
	s_addc_u32 s25, s3, 0
.LBB0_2:                                ; =>This Inner Loop Header: Depth=1
	s_load_b64 s[28:29], s[24:25], 0x0
                                        ; implicit-def: $vgpr162_vgpr163
	s_mov_b32 s2, exec_lo
	s_waitcnt lgkmcnt(0)
	v_or_b32_e32 v2, s29, v7
	s_delay_alu instid0(VALU_DEP_1)
	v_cmpx_ne_u64_e32 0, v[1:2]
	s_xor_b32 s3, exec_lo, s2
	s_cbranch_execz .LBB0_4
; %bb.3:                                ;   in Loop: Header=BB0_2 Depth=1
	v_cvt_f32_u32_e32 v2, s28
	v_cvt_f32_u32_e32 v3, s29
	s_sub_u32 s2, 0, s28
	s_subb_u32 s30, 0, s29
	s_delay_alu instid0(VALU_DEP_1) | instskip(NEXT) | instid1(VALU_DEP_1)
	v_fmac_f32_e32 v2, 0x4f800000, v3
	v_rcp_f32_e32 v2, v2
	s_waitcnt_depctr 0xfff
	v_mul_f32_e32 v2, 0x5f7ffffc, v2
	s_delay_alu instid0(VALU_DEP_1) | instskip(NEXT) | instid1(VALU_DEP_1)
	v_mul_f32_e32 v3, 0x2f800000, v2
	v_trunc_f32_e32 v3, v3
	s_delay_alu instid0(VALU_DEP_1) | instskip(SKIP_1) | instid1(VALU_DEP_2)
	v_fmac_f32_e32 v2, 0xcf800000, v3
	v_cvt_u32_f32_e32 v3, v3
	v_cvt_u32_f32_e32 v2, v2
	s_delay_alu instid0(VALU_DEP_2) | instskip(NEXT) | instid1(VALU_DEP_2)
	v_mul_lo_u32 v8, s2, v3
	v_mul_hi_u32 v9, s2, v2
	v_mul_lo_u32 v10, s30, v2
	s_delay_alu instid0(VALU_DEP_2) | instskip(SKIP_1) | instid1(VALU_DEP_2)
	v_add_nc_u32_e32 v8, v9, v8
	v_mul_lo_u32 v9, s2, v2
	v_add_nc_u32_e32 v8, v8, v10
	s_delay_alu instid0(VALU_DEP_2) | instskip(NEXT) | instid1(VALU_DEP_2)
	v_mul_hi_u32 v10, v2, v9
	v_mul_lo_u32 v11, v2, v8
	v_mul_hi_u32 v12, v2, v8
	v_mul_hi_u32 v13, v3, v9
	v_mul_lo_u32 v9, v3, v9
	v_mul_hi_u32 v14, v3, v8
	v_mul_lo_u32 v8, v3, v8
	v_add_co_u32 v10, vcc_lo, v10, v11
	v_add_co_ci_u32_e32 v11, vcc_lo, 0, v12, vcc_lo
	s_delay_alu instid0(VALU_DEP_2) | instskip(NEXT) | instid1(VALU_DEP_2)
	v_add_co_u32 v9, vcc_lo, v10, v9
	v_add_co_ci_u32_e32 v9, vcc_lo, v11, v13, vcc_lo
	v_add_co_ci_u32_e32 v10, vcc_lo, 0, v14, vcc_lo
	s_delay_alu instid0(VALU_DEP_2) | instskip(NEXT) | instid1(VALU_DEP_2)
	v_add_co_u32 v8, vcc_lo, v9, v8
	v_add_co_ci_u32_e32 v9, vcc_lo, 0, v10, vcc_lo
	s_delay_alu instid0(VALU_DEP_2) | instskip(NEXT) | instid1(VALU_DEP_2)
	v_add_co_u32 v2, vcc_lo, v2, v8
	v_add_co_ci_u32_e32 v3, vcc_lo, v3, v9, vcc_lo
	s_delay_alu instid0(VALU_DEP_2) | instskip(SKIP_1) | instid1(VALU_DEP_3)
	v_mul_hi_u32 v8, s2, v2
	v_mul_lo_u32 v10, s30, v2
	v_mul_lo_u32 v9, s2, v3
	s_delay_alu instid0(VALU_DEP_1) | instskip(SKIP_1) | instid1(VALU_DEP_2)
	v_add_nc_u32_e32 v8, v8, v9
	v_mul_lo_u32 v9, s2, v2
	v_add_nc_u32_e32 v8, v8, v10
	s_delay_alu instid0(VALU_DEP_2) | instskip(NEXT) | instid1(VALU_DEP_2)
	v_mul_hi_u32 v10, v2, v9
	v_mul_lo_u32 v11, v2, v8
	v_mul_hi_u32 v12, v2, v8
	v_mul_hi_u32 v13, v3, v9
	v_mul_lo_u32 v9, v3, v9
	v_mul_hi_u32 v14, v3, v8
	v_mul_lo_u32 v8, v3, v8
	v_add_co_u32 v10, vcc_lo, v10, v11
	v_add_co_ci_u32_e32 v11, vcc_lo, 0, v12, vcc_lo
	s_delay_alu instid0(VALU_DEP_2) | instskip(NEXT) | instid1(VALU_DEP_2)
	v_add_co_u32 v9, vcc_lo, v10, v9
	v_add_co_ci_u32_e32 v9, vcc_lo, v11, v13, vcc_lo
	v_add_co_ci_u32_e32 v10, vcc_lo, 0, v14, vcc_lo
	s_delay_alu instid0(VALU_DEP_2) | instskip(NEXT) | instid1(VALU_DEP_2)
	v_add_co_u32 v8, vcc_lo, v9, v8
	v_add_co_ci_u32_e32 v9, vcc_lo, 0, v10, vcc_lo
	s_delay_alu instid0(VALU_DEP_2) | instskip(NEXT) | instid1(VALU_DEP_2)
	v_add_co_u32 v10, vcc_lo, v2, v8
	v_add_co_ci_u32_e32 v12, vcc_lo, v3, v9, vcc_lo
	s_delay_alu instid0(VALU_DEP_2) | instskip(SKIP_1) | instid1(VALU_DEP_3)
	v_mul_hi_u32 v13, v6, v10
	v_mad_u64_u32 v[8:9], null, v7, v10, 0
	v_mad_u64_u32 v[2:3], null, v6, v12, 0
	;; [unrolled: 1-line block ×3, first 2 shown]
	s_delay_alu instid0(VALU_DEP_2) | instskip(NEXT) | instid1(VALU_DEP_3)
	v_add_co_u32 v2, vcc_lo, v13, v2
	v_add_co_ci_u32_e32 v3, vcc_lo, 0, v3, vcc_lo
	s_delay_alu instid0(VALU_DEP_2) | instskip(NEXT) | instid1(VALU_DEP_2)
	v_add_co_u32 v2, vcc_lo, v2, v8
	v_add_co_ci_u32_e32 v2, vcc_lo, v3, v9, vcc_lo
	v_add_co_ci_u32_e32 v3, vcc_lo, 0, v11, vcc_lo
	s_delay_alu instid0(VALU_DEP_2) | instskip(NEXT) | instid1(VALU_DEP_2)
	v_add_co_u32 v8, vcc_lo, v2, v10
	v_add_co_ci_u32_e32 v9, vcc_lo, 0, v3, vcc_lo
	s_delay_alu instid0(VALU_DEP_2) | instskip(SKIP_1) | instid1(VALU_DEP_3)
	v_mul_lo_u32 v10, s29, v8
	v_mad_u64_u32 v[2:3], null, s28, v8, 0
	v_mul_lo_u32 v11, s28, v9
	s_delay_alu instid0(VALU_DEP_2) | instskip(NEXT) | instid1(VALU_DEP_2)
	v_sub_co_u32 v2, vcc_lo, v6, v2
	v_add3_u32 v3, v3, v11, v10
	s_delay_alu instid0(VALU_DEP_1) | instskip(NEXT) | instid1(VALU_DEP_1)
	v_sub_nc_u32_e32 v10, v7, v3
	v_subrev_co_ci_u32_e64 v10, s2, s29, v10, vcc_lo
	v_add_co_u32 v11, s2, v8, 2
	s_delay_alu instid0(VALU_DEP_1) | instskip(SKIP_3) | instid1(VALU_DEP_3)
	v_add_co_ci_u32_e64 v12, s2, 0, v9, s2
	v_sub_co_u32 v13, s2, v2, s28
	v_sub_co_ci_u32_e32 v3, vcc_lo, v7, v3, vcc_lo
	v_subrev_co_ci_u32_e64 v10, s2, 0, v10, s2
	v_cmp_le_u32_e32 vcc_lo, s28, v13
	s_delay_alu instid0(VALU_DEP_3) | instskip(SKIP_1) | instid1(VALU_DEP_4)
	v_cmp_eq_u32_e64 s2, s29, v3
	v_cndmask_b32_e64 v13, 0, -1, vcc_lo
	v_cmp_le_u32_e32 vcc_lo, s29, v10
	v_cndmask_b32_e64 v14, 0, -1, vcc_lo
	v_cmp_le_u32_e32 vcc_lo, s28, v2
	;; [unrolled: 2-line block ×3, first 2 shown]
	v_cndmask_b32_e64 v15, 0, -1, vcc_lo
	v_cmp_eq_u32_e32 vcc_lo, s29, v10
	s_delay_alu instid0(VALU_DEP_2) | instskip(SKIP_3) | instid1(VALU_DEP_3)
	v_cndmask_b32_e64 v2, v15, v2, s2
	v_cndmask_b32_e32 v10, v14, v13, vcc_lo
	v_add_co_u32 v13, vcc_lo, v8, 1
	v_add_co_ci_u32_e32 v14, vcc_lo, 0, v9, vcc_lo
	v_cmp_ne_u32_e32 vcc_lo, 0, v10
	s_delay_alu instid0(VALU_DEP_2) | instskip(SKIP_1) | instid1(VALU_DEP_2)
	v_dual_cndmask_b32 v3, v14, v12 :: v_dual_cndmask_b32 v10, v13, v11
	v_cmp_ne_u32_e32 vcc_lo, 0, v2
	v_dual_cndmask_b32 v163, v9, v3 :: v_dual_cndmask_b32 v162, v8, v10
.LBB0_4:                                ;   in Loop: Header=BB0_2 Depth=1
	s_and_not1_saveexec_b32 s2, s3
	s_cbranch_execz .LBB0_6
; %bb.5:                                ;   in Loop: Header=BB0_2 Depth=1
	v_cvt_f32_u32_e32 v2, s28
	s_sub_i32 s3, 0, s28
	v_mov_b32_e32 v163, v1
	s_delay_alu instid0(VALU_DEP_2) | instskip(SKIP_2) | instid1(VALU_DEP_1)
	v_rcp_iflag_f32_e32 v2, v2
	s_waitcnt_depctr 0xfff
	v_mul_f32_e32 v2, 0x4f7ffffe, v2
	v_cvt_u32_f32_e32 v2, v2
	s_delay_alu instid0(VALU_DEP_1) | instskip(NEXT) | instid1(VALU_DEP_1)
	v_mul_lo_u32 v3, s3, v2
	v_mul_hi_u32 v3, v2, v3
	s_delay_alu instid0(VALU_DEP_1) | instskip(NEXT) | instid1(VALU_DEP_1)
	v_add_nc_u32_e32 v2, v2, v3
	v_mul_hi_u32 v2, v6, v2
	s_delay_alu instid0(VALU_DEP_1) | instskip(SKIP_1) | instid1(VALU_DEP_2)
	v_mul_lo_u32 v3, v2, s28
	v_add_nc_u32_e32 v8, 1, v2
	v_sub_nc_u32_e32 v3, v6, v3
	s_delay_alu instid0(VALU_DEP_1) | instskip(SKIP_1) | instid1(VALU_DEP_2)
	v_subrev_nc_u32_e32 v9, s28, v3
	v_cmp_le_u32_e32 vcc_lo, s28, v3
	v_dual_cndmask_b32 v3, v3, v9 :: v_dual_cndmask_b32 v2, v2, v8
	s_delay_alu instid0(VALU_DEP_1) | instskip(NEXT) | instid1(VALU_DEP_2)
	v_cmp_le_u32_e32 vcc_lo, s28, v3
	v_add_nc_u32_e32 v8, 1, v2
	s_delay_alu instid0(VALU_DEP_1)
	v_cndmask_b32_e32 v162, v2, v8, vcc_lo
.LBB0_6:                                ;   in Loop: Header=BB0_2 Depth=1
	s_or_b32 exec_lo, exec_lo, s2
	s_delay_alu instid0(VALU_DEP_1) | instskip(NEXT) | instid1(VALU_DEP_2)
	v_mul_lo_u32 v8, v163, s28
	v_mul_lo_u32 v9, v162, s29
	s_load_b64 s[2:3], s[22:23], 0x0
	v_mad_u64_u32 v[2:3], null, v162, s28, 0
	s_load_b64 s[28:29], s[14:15], 0x0
	s_add_u32 s26, s26, 1
	s_addc_u32 s27, s27, 0
	s_add_u32 s14, s14, 8
	s_addc_u32 s15, s15, 0
	s_add_u32 s22, s22, 8
	s_delay_alu instid0(VALU_DEP_1) | instskip(SKIP_3) | instid1(VALU_DEP_2)
	v_add3_u32 v3, v3, v9, v8
	v_sub_co_u32 v8, vcc_lo, v6, v2
	s_addc_u32 s23, s23, 0
	s_add_u32 s24, s24, 8
	v_sub_co_ci_u32_e32 v6, vcc_lo, v7, v3, vcc_lo
	s_addc_u32 s25, s25, 0
	s_waitcnt lgkmcnt(0)
	s_delay_alu instid0(VALU_DEP_1)
	v_mul_lo_u32 v9, s2, v6
	v_mul_lo_u32 v10, s3, v8
	v_mad_u64_u32 v[2:3], null, s2, v8, v[4:5]
	v_mul_lo_u32 v11, s28, v6
	v_mul_lo_u32 v12, s29, v8
	v_mad_u64_u32 v[6:7], null, s28, v8, v[160:161]
	v_cmp_ge_u64_e64 s2, s[26:27], s[10:11]
	v_add3_u32 v5, v10, v3, v9
	v_mov_b32_e32 v4, v2
	s_delay_alu instid0(VALU_DEP_4)
	v_add3_u32 v161, v12, v7, v11
	v_mov_b32_e32 v160, v6
	s_and_b32 vcc_lo, exec_lo, s2
	s_cbranch_vccnz .LBB0_9
; %bb.7:                                ;   in Loop: Header=BB0_2 Depth=1
	v_dual_mov_b32 v6, v162 :: v_dual_mov_b32 v7, v163
	s_branch .LBB0_2
.LBB0_8:
	v_dual_mov_b32 v161, v5 :: v_dual_mov_b32 v160, v4
	s_delay_alu instid0(VALU_DEP_2)
	v_dual_mov_b32 v163, v7 :: v_dual_mov_b32 v162, v6
.LBB0_9:
	s_load_b64 s[0:1], s[0:1], 0x28
	v_mul_hi_u32 v1, 0x2d82d83, v0
	s_lshl_b64 s[2:3], s[10:11], 3
                                        ; implicit-def: $vgpr204
                                        ; implicit-def: $vgpr232
                                        ; implicit-def: $vgpr231
                                        ; implicit-def: $vgpr205
                                        ; implicit-def: $vgpr180
                                        ; implicit-def: $vgpr181
                                        ; implicit-def: $vgpr208
                                        ; implicit-def: $vgpr209
                                        ; implicit-def: $vgpr210
                                        ; implicit-def: $vgpr214
	s_delay_alu instid0(SALU_CYCLE_1) | instskip(SKIP_4) | instid1(VALU_DEP_1)
	s_add_u32 s10, s18, s2
	s_addc_u32 s11, s19, s3
	s_waitcnt lgkmcnt(0)
	v_cmp_gt_u64_e32 vcc_lo, s[0:1], v[162:163]
	v_cmp_le_u64_e64 s0, s[0:1], v[162:163]
	s_and_saveexec_b32 s1, s0
	s_delay_alu instid0(SALU_CYCLE_1)
	s_xor_b32 s0, exec_lo, s1
; %bb.10:
	v_mul_u32_u24_e32 v1, 0x5a, v1
                                        ; implicit-def: $vgpr4_vgpr5
	s_delay_alu instid0(VALU_DEP_1) | instskip(NEXT) | instid1(VALU_DEP_1)
	v_sub_nc_u32_e32 v204, v0, v1
                                        ; implicit-def: $vgpr1
                                        ; implicit-def: $vgpr0
	v_add_nc_u32_e32 v232, 0x5a, v204
	v_add_nc_u32_e32 v231, 0xb4, v204
	;; [unrolled: 1-line block ×9, first 2 shown]
; %bb.11:
	s_or_saveexec_b32 s1, s0
                                        ; implicit-def: $vgpr22_vgpr23
                                        ; implicit-def: $vgpr18_vgpr19
                                        ; implicit-def: $vgpr26_vgpr27
                                        ; implicit-def: $vgpr34_vgpr35
                                        ; implicit-def: $vgpr38_vgpr39
                                        ; implicit-def: $vgpr30_vgpr31
                                        ; implicit-def: $vgpr46_vgpr47
                                        ; implicit-def: $vgpr42_vgpr43
                                        ; implicit-def: $vgpr50_vgpr51
                                        ; implicit-def: $vgpr58_vgpr59
                                        ; implicit-def: $vgpr54_vgpr55
                                        ; implicit-def: $vgpr62_vgpr63
                                        ; implicit-def: $vgpr70_vgpr71
                                        ; implicit-def: $vgpr66_vgpr67
                                        ; implicit-def: $vgpr74_vgpr75
                                        ; implicit-def: $vgpr82_vgpr83
                                        ; implicit-def: $vgpr78_vgpr79
                                        ; implicit-def: $vgpr86_vgpr87
                                        ; implicit-def: $vgpr98_vgpr99
                                        ; implicit-def: $vgpr94_vgpr95
                                        ; implicit-def: $vgpr102_vgpr103
                                        ; implicit-def: $vgpr110_vgpr111
                                        ; implicit-def: $vgpr106_vgpr107
                                        ; implicit-def: $vgpr90_vgpr91
                                        ; implicit-def: $vgpr114_vgpr115
                                        ; implicit-def: $vgpr118_vgpr119
                                        ; implicit-def: $vgpr2_vgpr3
                                        ; implicit-def: $vgpr10_vgpr11
                                        ; implicit-def: $vgpr14_vgpr15
                                        ; implicit-def: $vgpr6_vgpr7
	s_delay_alu instid0(SALU_CYCLE_1)
	s_xor_b32 exec_lo, exec_lo, s1
	s_cbranch_execz .LBB0_13
; %bb.12:
	v_mul_u32_u24_e32 v1, 0x5a, v1
	s_add_u32 s2, s16, s2
	s_addc_u32 s3, s17, s3
	s_load_b64 s[2:3], s[2:3], 0x0
	s_delay_alu instid0(VALU_DEP_1) | instskip(SKIP_1) | instid1(VALU_DEP_2)
	v_sub_nc_u32_e32 v204, v0, v1
	v_lshlrev_b64 v[0:1], 4, v[4:5]
	v_add_nc_u32_e32 v231, 0xb4, v204
	v_mad_u64_u32 v[2:3], null, s20, v204, 0
	v_add_nc_u32_e32 v205, 0x10e, v204
	v_add_nc_u32_e32 v181, 0x1c2, v204
	s_delay_alu instid0(VALU_DEP_4)
	v_mad_u64_u32 v[22:23], null, s20, v231, 0
	v_add_nc_u32_e32 v19, 0x3de, v204
	v_add_nc_u32_e32 v64, 0x97e, v204
	;; [unrolled: 1-line block ×5, first 2 shown]
	v_mad_u64_u32 v[16:17], null, s20, v19, 0
	v_add_nc_u32_e32 v15, 0x384, v204
	s_waitcnt lgkmcnt(0)
	v_mul_lo_u32 v14, s3, v162
	v_mul_lo_u32 v20, s2, v163
	v_mad_u64_u32 v[8:9], null, s2, v162, 0
	v_mad_u64_u32 v[4:5], null, s20, v15, 0
	v_add_nc_u32_e32 v18, 0x708, v204
	v_add_nc_u32_e32 v38, 0x492, v204
	;; [unrolled: 1-line block ×4, first 2 shown]
	v_add3_u32 v9, v9, v20, v14
	v_add_nc_u32_e32 v44, 0x4ec, v204
	v_mad_u64_u32 v[12:13], null, s21, v204, v[3:4]
	v_mov_b32_e32 v3, v5
	v_mad_u64_u32 v[6:7], null, s20, v18, 0
	v_add_nc_u32_e32 v232, 0x5a, v204
	v_lshlrev_b64 v[8:9], 4, v[8:9]
	s_delay_alu instid0(VALU_DEP_4)
	v_mad_u64_u32 v[13:14], null, s21, v15, v[3:4]
	v_dual_mov_b32 v3, v12 :: v_dual_add_nc_u32 v46, 0x870, v204
	v_mov_b32_e32 v5, v7
	v_mad_u64_u32 v[10:11], null, s20, v232, 0
	v_add_nc_u32_e32 v50, 0x546, v204
	v_add_nc_u32_e32 v52, 0x8ca, v204
	;; [unrolled: 1-line block ×6, first 2 shown]
	v_mov_b32_e32 v7, v11
	v_mad_u64_u32 v[11:12], null, s21, v18, v[5:6]
	v_dual_mov_b32 v5, v13 :: v_dual_add_nc_u32 v12, 0x762, v204
	s_delay_alu instid0(VALU_DEP_3) | instskip(SKIP_1) | instid1(VALU_DEP_1)
	v_mad_u64_u32 v[14:15], null, s21, v232, v[7:8]
	v_add_co_u32 v7, s0, s4, v8
	v_add_co_ci_u32_e64 v8, s0, s5, v9, s0
	s_delay_alu instid0(VALU_DEP_2) | instskip(SKIP_1) | instid1(VALU_DEP_3)
	v_add_co_u32 v26, s0, v7, v0
	v_mov_b32_e32 v7, v11
	v_add_co_ci_u32_e64 v27, s0, v8, v1, s0
	v_lshlrev_b64 v[0:1], 4, v[4:5]
	v_mov_b32_e32 v11, v14
	s_delay_alu instid0(VALU_DEP_4) | instskip(SKIP_1) | instid1(VALU_DEP_3)
	v_lshlrev_b64 v[5:6], 4, v[6:7]
	v_mov_b32_e32 v4, v17
	v_lshlrev_b64 v[7:8], 4, v[10:11]
	s_delay_alu instid0(VALU_DEP_2) | instskip(SKIP_1) | instid1(VALU_DEP_1)
	v_mad_u64_u32 v[9:10], null, s21, v19, v[4:5]
	v_mad_u64_u32 v[18:19], null, s20, v12, 0
	v_dual_mov_b32 v17, v9 :: v_dual_mov_b32 v4, v19
	v_lshlrev_b64 v[2:3], 4, v[2:3]
	s_delay_alu instid0(VALU_DEP_2) | instskip(NEXT) | instid1(VALU_DEP_3)
	v_lshlrev_b64 v[16:17], 4, v[16:17]
	v_mad_u64_u32 v[24:25], null, s21, v12, v[4:5]
	s_delay_alu instid0(VALU_DEP_3) | instskip(NEXT) | instid1(VALU_DEP_1)
	v_add_co_u32 v2, s0, v26, v2
	v_add_co_ci_u32_e64 v3, s0, v27, v3, s0
	v_add_co_u32 v0, s0, v26, v0
	s_delay_alu instid0(VALU_DEP_1) | instskip(SKIP_1) | instid1(VALU_DEP_1)
	v_add_co_ci_u32_e64 v1, s0, v27, v1, s0
	v_add_co_u32 v10, s0, v26, v5
	v_add_co_ci_u32_e64 v11, s0, v27, v6, s0
	v_add_co_u32 v20, s0, v26, v7
	s_delay_alu instid0(VALU_DEP_1)
	v_add_co_ci_u32_e64 v21, s0, v27, v8, s0
	s_clause 0x3
	global_load_b128 v[4:7], v[2:3], off
	global_load_b128 v[12:15], v[0:1], off
	;; [unrolled: 1-line block ×4, first 2 shown]
	v_add_nc_u32_e32 v21, 0x438, v204
	v_dual_mov_b32 v19, v24 :: v_dual_mov_b32 v20, v23
	v_add_co_u32 v16, s0, v26, v16
	s_delay_alu instid0(VALU_DEP_3) | instskip(NEXT) | instid1(VALU_DEP_3)
	v_mad_u64_u32 v[24:25], null, s20, v21, 0
	v_mad_u64_u32 v[28:29], null, s21, v231, v[20:21]
	s_delay_alu instid0(VALU_DEP_4) | instskip(SKIP_1) | instid1(VALU_DEP_3)
	v_lshlrev_b64 v[18:19], 4, v[18:19]
	v_add_co_ci_u32_e64 v17, s0, v27, v17, s0
	v_dual_mov_b32 v20, v25 :: v_dual_mov_b32 v23, v28
	v_mad_u64_u32 v[28:29], null, s20, v34, 0
	s_delay_alu instid0(VALU_DEP_2) | instskip(NEXT) | instid1(VALU_DEP_3)
	v_mad_u64_u32 v[30:31], null, s21, v21, v[20:21]
	v_lshlrev_b64 v[20:21], 4, v[22:23]
	v_add_co_u32 v18, s0, v26, v18
	s_delay_alu instid0(VALU_DEP_1) | instskip(NEXT) | instid1(VALU_DEP_4)
	v_add_co_ci_u32_e64 v19, s0, v27, v19, s0
	v_dual_mov_b32 v22, v29 :: v_dual_mov_b32 v25, v30
	v_mad_u64_u32 v[30:31], null, s20, v205, 0
	v_add_co_u32 v20, s0, v26, v20
	s_delay_alu instid0(VALU_DEP_3) | instskip(NEXT) | instid1(VALU_DEP_4)
	v_mad_u64_u32 v[32:33], null, s21, v34, v[22:23]
	v_lshlrev_b64 v[22:23], 4, v[24:25]
	v_add_co_ci_u32_e64 v21, s0, v27, v21, s0
	v_mov_b32_e32 v24, v31
	s_clause 0x1
	global_load_b128 v[116:119], v[16:17], off
	global_load_b128 v[112:115], v[18:19], off
	v_mov_b32_e32 v29, v32
	v_mad_u64_u32 v[32:33], null, s20, v38, 0
	v_mad_u64_u32 v[34:35], null, s21, v205, v[24:25]
	s_delay_alu instid0(VALU_DEP_3) | instskip(SKIP_1) | instid1(VALU_DEP_1)
	v_lshlrev_b64 v[24:25], 4, v[28:29]
	v_add_co_u32 v22, s0, v26, v22
	v_add_co_ci_u32_e64 v23, s0, v27, v23, s0
	s_delay_alu instid0(VALU_DEP_4) | instskip(SKIP_2) | instid1(VALU_DEP_3)
	v_dual_mov_b32 v28, v33 :: v_dual_mov_b32 v31, v34
	v_mad_u64_u32 v[34:35], null, s20, v40, 0
	v_add_co_u32 v24, s0, v26, v24
	v_mad_u64_u32 v[36:37], null, s21, v38, v[28:29]
	s_delay_alu instid0(VALU_DEP_4)
	v_lshlrev_b64 v[28:29], 4, v[30:31]
	v_add_co_ci_u32_e64 v25, s0, v27, v25, s0
	v_mov_b32_e32 v30, v35
	s_clause 0x1
	global_load_b128 v[88:91], v[20:21], off
	global_load_b128 v[104:107], v[22:23], off
	v_add_co_u32 v28, s0, v26, v28
	v_mad_u64_u32 v[38:39], null, s21, v40, v[30:31]
	v_add_co_ci_u32_e64 v29, s0, v27, v29, s0
	s_delay_alu instid0(VALU_DEP_2) | instskip(SKIP_3) | instid1(VALU_DEP_2)
	v_mov_b32_e32 v35, v38
	v_mad_u64_u32 v[38:39], null, s20, v44, 0
	v_mov_b32_e32 v33, v36
	v_mad_u64_u32 v[36:37], null, s20, v180, 0
	v_lshlrev_b64 v[30:31], 4, v[32:33]
	s_delay_alu instid0(VALU_DEP_2) | instskip(NEXT) | instid1(VALU_DEP_2)
	v_mov_b32_e32 v32, v37
	v_add_co_u32 v30, s0, v26, v30
	s_delay_alu instid0(VALU_DEP_1) | instskip(NEXT) | instid1(VALU_DEP_3)
	v_add_co_ci_u32_e64 v31, s0, v27, v31, s0
	v_mad_u64_u32 v[40:41], null, s21, v180, v[32:33]
	v_lshlrev_b64 v[32:33], 4, v[34:35]
	s_delay_alu instid0(VALU_DEP_2) | instskip(SKIP_1) | instid1(VALU_DEP_2)
	v_dual_mov_b32 v34, v39 :: v_dual_mov_b32 v37, v40
	v_mad_u64_u32 v[40:41], null, s20, v46, 0
	v_mad_u64_u32 v[42:43], null, s21, v44, v[34:35]
	s_delay_alu instid0(VALU_DEP_3) | instskip(SKIP_1) | instid1(VALU_DEP_1)
	v_lshlrev_b64 v[34:35], 4, v[36:37]
	v_add_co_u32 v32, s0, v26, v32
	v_add_co_ci_u32_e64 v33, s0, v27, v33, s0
	s_delay_alu instid0(VALU_DEP_4) | instskip(SKIP_2) | instid1(VALU_DEP_3)
	v_dual_mov_b32 v36, v41 :: v_dual_mov_b32 v39, v42
	v_mad_u64_u32 v[42:43], null, s20, v181, 0
	v_add_co_u32 v34, s0, v26, v34
	v_mad_u64_u32 v[44:45], null, s21, v46, v[36:37]
	s_delay_alu instid0(VALU_DEP_4) | instskip(SKIP_1) | instid1(VALU_DEP_3)
	v_lshlrev_b64 v[36:37], 4, v[38:39]
	v_add_co_ci_u32_e64 v35, s0, v27, v35, s0
	v_dual_mov_b32 v38, v43 :: v_dual_mov_b32 v41, v44
	v_mad_u64_u32 v[44:45], null, s20, v50, 0
	s_delay_alu instid0(VALU_DEP_2) | instskip(NEXT) | instid1(VALU_DEP_3)
	v_mad_u64_u32 v[46:47], null, s21, v181, v[38:39]
	v_lshlrev_b64 v[38:39], 4, v[40:41]
	v_add_co_u32 v36, s0, v26, v36
	s_delay_alu instid0(VALU_DEP_1) | instskip(NEXT) | instid1(VALU_DEP_4)
	v_add_co_ci_u32_e64 v37, s0, v27, v37, s0
	v_dual_mov_b32 v40, v45 :: v_dual_mov_b32 v43, v46
	v_mad_u64_u32 v[46:47], null, s20, v52, 0
	v_add_co_u32 v38, s0, v26, v38
	s_delay_alu instid0(VALU_DEP_3) | instskip(NEXT) | instid1(VALU_DEP_4)
	v_mad_u64_u32 v[48:49], null, s21, v50, v[40:41]
	v_lshlrev_b64 v[40:41], 4, v[42:43]
	v_add_co_ci_u32_e64 v39, s0, v27, v39, s0
	s_delay_alu instid0(VALU_DEP_3) | instskip(SKIP_1) | instid1(VALU_DEP_2)
	v_dual_mov_b32 v42, v47 :: v_dual_mov_b32 v45, v48
	v_mad_u64_u32 v[48:49], null, s20, v208, 0
	v_mad_u64_u32 v[50:51], null, s21, v52, v[42:43]
	v_add_nc_u32_e32 v56, 0x5a0, v204
	s_delay_alu instid0(VALU_DEP_4)
	v_lshlrev_b64 v[42:43], 4, v[44:45]
	v_add_co_u32 v40, s0, v26, v40
	v_mov_b32_e32 v44, v49
	v_add_co_ci_u32_e64 v41, s0, v27, v41, s0
	v_mov_b32_e32 v47, v50
	v_mad_u64_u32 v[50:51], null, s20, v56, 0
	s_delay_alu instid0(VALU_DEP_4) | instskip(NEXT) | instid1(VALU_DEP_3)
	v_mad_u64_u32 v[52:53], null, s21, v208, v[44:45]
	v_lshlrev_b64 v[44:45], 4, v[46:47]
	v_add_co_u32 v42, s0, v26, v42
	s_delay_alu instid0(VALU_DEP_1) | instskip(NEXT) | instid1(VALU_DEP_4)
	v_add_co_ci_u32_e64 v43, s0, v27, v43, s0
	v_dual_mov_b32 v46, v51 :: v_dual_mov_b32 v49, v52
	s_delay_alu instid0(VALU_DEP_4) | instskip(NEXT) | instid1(VALU_DEP_1)
	v_add_co_u32 v44, s0, v26, v44
	v_add_co_ci_u32_e64 v45, s0, v27, v45, s0
	s_delay_alu instid0(VALU_DEP_3) | instskip(SKIP_2) | instid1(VALU_DEP_3)
	v_mad_u64_u32 v[54:55], null, s21, v56, v[46:47]
	v_add_nc_u32_e32 v58, 0x924, v204
	v_lshlrev_b64 v[46:47], 4, v[48:49]
	v_mov_b32_e32 v51, v54
	s_delay_alu instid0(VALU_DEP_3) | instskip(SKIP_1) | instid1(VALU_DEP_4)
	v_mad_u64_u32 v[52:53], null, s20, v58, 0
	v_mad_u64_u32 v[54:55], null, s20, v209, 0
	v_add_co_u32 v46, s0, v26, v46
	s_delay_alu instid0(VALU_DEP_1) | instskip(NEXT) | instid1(VALU_DEP_4)
	v_add_co_ci_u32_e64 v47, s0, v27, v47, s0
	v_mov_b32_e32 v48, v53
	s_delay_alu instid0(VALU_DEP_1) | instskip(SKIP_2) | instid1(VALU_DEP_1)
	v_mad_u64_u32 v[56:57], null, s21, v58, v[48:49]
	v_lshlrev_b64 v[48:49], 4, v[50:51]
	v_mov_b32_e32 v50, v55
	v_mad_u64_u32 v[58:59], null, s21, v209, v[50:51]
	s_delay_alu instid0(VALU_DEP_4) | instskip(NEXT) | instid1(VALU_DEP_4)
	v_dual_mov_b32 v53, v56 :: v_dual_add_nc_u32 v62, 0x5fa, v204
	v_add_co_u32 v48, s0, v26, v48
	s_delay_alu instid0(VALU_DEP_1) | instskip(NEXT) | instid1(VALU_DEP_4)
	v_add_co_ci_u32_e64 v49, s0, v27, v49, s0
	v_mov_b32_e32 v55, v58
	s_delay_alu instid0(VALU_DEP_4) | instskip(SKIP_2) | instid1(VALU_DEP_3)
	v_mad_u64_u32 v[56:57], null, s20, v62, 0
	v_lshlrev_b64 v[50:51], 4, v[52:53]
	v_mad_u64_u32 v[58:59], null, s20, v64, 0
	v_mov_b32_e32 v52, v57
	s_delay_alu instid0(VALU_DEP_3) | instskip(NEXT) | instid1(VALU_DEP_1)
	v_add_co_u32 v50, s0, v26, v50
	v_add_co_ci_u32_e64 v51, s0, v27, v51, s0
	s_delay_alu instid0(VALU_DEP_3) | instskip(SKIP_1) | instid1(VALU_DEP_2)
	v_mad_u64_u32 v[60:61], null, s21, v62, v[52:53]
	v_lshlrev_b64 v[52:53], 4, v[54:55]
	v_dual_mov_b32 v54, v59 :: v_dual_mov_b32 v57, v60
	v_mad_u64_u32 v[60:61], null, s20, v210, 0
	s_delay_alu instid0(VALU_DEP_2) | instskip(SKIP_2) | instid1(VALU_DEP_1)
	v_mad_u64_u32 v[62:63], null, s21, v64, v[54:55]
	v_add_nc_u32_e32 v64, 0x654, v204
	v_add_co_u32 v120, s0, v26, v52
	v_add_co_ci_u32_e64 v121, s0, v27, v53, s0
	v_lshlrev_b64 v[52:53], 4, v[56:57]
	s_delay_alu instid0(VALU_DEP_4) | instskip(SKIP_1) | instid1(VALU_DEP_3)
	v_mad_u64_u32 v[55:56], null, s20, v64, 0
	v_dual_mov_b32 v54, v61 :: v_dual_mov_b32 v59, v62
	v_add_co_u32 v122, s0, v26, v52
	s_delay_alu instid0(VALU_DEP_1) | instskip(NEXT) | instid1(VALU_DEP_3)
	v_add_co_ci_u32_e64 v123, s0, v27, v53, s0
	v_mad_u64_u32 v[61:62], null, s21, v210, v[54:55]
	s_delay_alu instid0(VALU_DEP_4) | instskip(SKIP_2) | instid1(VALU_DEP_3)
	v_lshlrev_b64 v[53:54], 4, v[58:59]
	v_mad_u64_u32 v[57:58], null, s20, v65, 0
	v_mov_b32_e32 v52, v56
	v_add_co_u32 v124, s0, v26, v53
	s_delay_alu instid0(VALU_DEP_2) | instskip(SKIP_3) | instid1(VALU_DEP_4)
	v_mad_u64_u32 v[62:63], null, s21, v64, v[52:53]
	v_add_co_ci_u32_e64 v125, s0, v27, v54, s0
	v_mov_b32_e32 v54, v58
	v_lshlrev_b64 v[52:53], 4, v[60:61]
	v_mov_b32_e32 v56, v62
	s_delay_alu instid0(VALU_DEP_3) | instskip(SKIP_3) | instid1(VALU_DEP_1)
	v_mad_u64_u32 v[58:59], null, s21, v65, v[54:55]
	v_mad_u64_u32 v[59:60], null, s20, v214, 0
	;; [unrolled: 1-line block ×3, first 2 shown]
	v_add_co_u32 v126, s0, v26, v52
	v_add_co_ci_u32_e64 v127, s0, v27, v53, s0
	v_lshlrev_b64 v[52:53], 4, v[55:56]
	s_delay_alu instid0(VALU_DEP_4) | instskip(SKIP_1) | instid1(VALU_DEP_3)
	v_dual_mov_b32 v54, v60 :: v_dual_mov_b32 v55, v62
	v_add_nc_u32_e32 v56, 0xa32, v204
	v_add_co_u32 v128, s0, v26, v52
	s_delay_alu instid0(VALU_DEP_3) | instskip(NEXT) | instid1(VALU_DEP_3)
	v_mad_u64_u32 v[62:63], null, s21, v214, v[54:55]
	v_mad_u64_u32 v[63:64], null, s20, v56, 0
	;; [unrolled: 1-line block ×3, first 2 shown]
	v_add_co_ci_u32_e64 v129, s0, v27, v53, s0
	v_lshlrev_b64 v[52:53], 4, v[57:58]
	v_mov_b32_e32 v60, v62
	v_mov_b32_e32 v54, v64
	;; [unrolled: 1-line block ×3, first 2 shown]
	s_delay_alu instid0(VALU_DEP_2) | instskip(SKIP_1) | instid1(VALU_DEP_1)
	v_mad_u64_u32 v[16:17], null, s21, v56, v[54:55]
	v_add_co_u32 v17, s0, v26, v52
	v_add_co_ci_u32_e64 v18, s0, v27, v53, s0
	v_lshlrev_b64 v[52:53], 4, v[59:60]
	v_lshlrev_b64 v[19:20], 4, v[61:62]
	v_mov_b32_e32 v64, v16
	s_delay_alu instid0(VALU_DEP_3) | instskip(NEXT) | instid1(VALU_DEP_1)
	v_add_co_u32 v21, s0, v26, v52
	v_add_co_ci_u32_e64 v22, s0, v27, v53, s0
	s_delay_alu instid0(VALU_DEP_3) | instskip(SKIP_1) | instid1(VALU_DEP_1)
	v_lshlrev_b64 v[52:53], 4, v[63:64]
	v_add_co_u32 v19, s0, v26, v19
	v_add_co_ci_u32_e64 v20, s0, v27, v20, s0
	s_delay_alu instid0(VALU_DEP_3) | instskip(NEXT) | instid1(VALU_DEP_1)
	v_add_co_u32 v130, s0, v26, v52
	v_add_co_ci_u32_e64 v131, s0, v27, v53, s0
	s_clause 0x15
	global_load_b128 v[108:111], v[24:25], off
	global_load_b128 v[100:103], v[28:29], off
	;; [unrolled: 1-line block ×22, first 2 shown]
.LBB0_13:
	s_or_b32 exec_lo, exec_lo, s1
	s_waitcnt vmcnt(28)
	v_add_f64 v[122:123], v[14:15], v[6:7]
	s_waitcnt vmcnt(25)
	v_add_f64 v[128:129], v[116:117], v[0:1]
	v_add_f64 v[130:131], v[118:119], v[2:3]
	s_waitcnt vmcnt(24)
	v_add_f64 v[134:135], v[114:115], v[118:119]
	;; [unrolled: 3-line block ×3, first 2 shown]
	v_add_f64 v[124:125], v[8:9], v[12:13]
	v_add_f64 v[132:133], v[112:113], v[116:117]
	s_waitcnt vmcnt(21)
	v_add_f64 v[140:141], v[108:109], v[104:105]
	s_waitcnt vmcnt(18)
	v_add_f64 v[146:147], v[96:97], v[92:93]
	v_add_f64 v[148:149], v[94:95], v[102:103]
	v_add_f64 v[150:151], v[98:99], v[94:95]
	s_waitcnt vmcnt(16)
	v_add_f64 v[156:157], v[78:79], v[86:87]
	s_waitcnt vmcnt(15)
	v_add_f64 v[158:159], v[82:83], v[78:79]
	v_add_f64 v[154:155], v[80:81], v[76:77]
	s_waitcnt vmcnt(12)
	v_add_f64 v[168:169], v[68:69], v[64:65]
	v_add_f64 v[126:127], v[10:11], v[14:15]
	;; [unrolled: 1-line block ×7, first 2 shown]
	s_waitcnt vmcnt(9)
	v_add_f64 v[174:175], v[56:57], v[52:53]
	s_waitcnt vmcnt(6)
	v_add_f64 v[176:177], v[44:45], v[40:41]
	v_add_f64 v[136:137], v[104:105], v[88:89]
	s_waitcnt vmcnt(3)
	v_add_f64 v[178:179], v[32:33], v[36:37]
	v_add_f64 v[14:15], v[14:15], -v[10:11]
	v_add_f64 v[118:119], v[118:119], -v[114:115]
	;; [unrolled: 1-line block ×3, first 2 shown]
	v_add_f64 v[142:143], v[110:111], v[106:107]
	v_add_f64 v[12:13], v[12:13], -v[8:9]
	v_add_f64 v[106:107], v[106:107], -v[110:111]
	;; [unrolled: 1-line block ×6, first 2 shown]
	s_mov_b32 s2, 0xe8584caa
	s_mov_b32 s3, 0xbfebb67a
	v_add_f64 v[116:117], v[10:11], v[122:123]
	v_add_f64 v[10:11], v[112:113], v[128:129]
	v_add_f64 v[112:113], v[114:115], v[130:131]
	v_fma_f64 v[114:115], v[134:135], -0.5, v[2:3]
	s_waitcnt vmcnt(0)
	v_add_f64 v[2:3], v[20:21], v[16:17]
	v_add_f64 v[8:9], v[8:9], v[120:121]
	v_add_f64 v[120:121], v[104:105], -v[108:109]
	v_add_f64 v[104:105], v[110:111], v[138:139]
	v_add_f64 v[110:111], v[54:55], v[62:63]
	v_fma_f64 v[4:5], v[124:125], -0.5, v[4:5]
	v_fma_f64 v[0:1], v[132:133], -0.5, v[0:1]
	v_fma_f64 v[124:125], v[140:141], -0.5, v[88:89]
	v_fma_f64 v[100:101], v[146:147], -0.5, v[100:101]
	v_add_f64 v[88:89], v[98:99], v[148:149]
	v_fma_f64 v[98:99], v[150:151], -0.5, v[102:103]
	v_add_f64 v[102:103], v[78:79], -v[82:83]
	v_add_f64 v[78:79], v[82:83], v[156:157]
	v_fma_f64 v[82:83], v[158:159], -0.5, v[86:87]
	v_add_f64 v[86:87], v[46:47], v[42:43]
	v_fma_f64 v[84:85], v[154:155], -0.5, v[84:85]
	v_add_f64 v[122:123], v[52:53], v[60:61]
	v_add_f64 v[130:131], v[40:41], v[48:49]
	v_fma_f64 v[72:73], v[168:169], -0.5, v[72:73]
	v_add_f64 v[134:135], v[66:67], -v[70:71]
	v_fma_f64 v[6:7], v[126:127], -0.5, v[6:7]
	v_add_f64 v[126:127], v[58:59], v[54:55]
	v_add_f64 v[128:129], v[96:97], v[144:145]
	v_add_f64 v[96:97], v[80:81], v[152:153]
	v_add_f64 v[80:81], v[68:69], v[164:165]
	v_add_f64 v[66:67], v[70:71], v[170:171]
	v_fma_f64 v[70:71], v[172:173], -0.5, v[74:75]
	v_fma_f64 v[60:61], v[174:175], -0.5, v[60:61]
	v_add_f64 v[68:69], v[36:37], v[28:29]
	v_add_f64 v[54:55], v[54:55], -v[58:59]
	v_fma_f64 v[48:49], v[176:177], -0.5, v[48:49]
	v_add_f64 v[74:75], v[42:43], -v[46:47]
	v_add_f64 v[108:109], v[108:109], v[136:137]
	v_add_f64 v[136:137], v[38:39], -v[34:35]
	v_fma_f64 v[28:29], v[178:179], -0.5, v[28:29]
	v_add_f64 v[138:139], v[18:19], -v[22:23]
	v_add_f64 v[132:133], v[42:43], v[50:51]
	v_add_f64 v[140:141], v[38:39], v[30:31]
	v_fma_f64 v[2:3], v[2:3], -0.5, v[24:25]
	v_add_f64 v[24:25], v[16:17], v[24:25]
	v_add_f64 v[38:39], v[34:35], v[38:39]
	s_mov_b32 s5, 0x3febb67a
	v_add_f64 v[42:43], v[58:59], v[110:111]
	v_add_f64 v[58:59], v[22:23], v[18:19]
	s_mov_b32 s4, s2
	v_fma_f64 v[110:111], v[14:15], s[2:3], v[4:5]
	v_fma_f64 v[4:5], v[14:15], s[4:5], v[4:5]
	;; [unrolled: 1-line block ×6, first 2 shown]
	v_add_f64 v[52:53], v[52:53], -v[56:57]
	v_fma_f64 v[50:51], v[86:87], -0.5, v[50:51]
	v_fma_f64 v[86:87], v[94:95], s[2:3], v[100:101]
	v_fma_f64 v[94:95], v[94:95], s[4:5], v[100:101]
	;; [unrolled: 1-line block ×4, first 2 shown]
	v_add_f64 v[122:123], v[56:57], v[122:123]
	v_add_f64 v[56:57], v[44:45], v[130:131]
	v_add_f64 v[40:41], v[40:41], -v[44:45]
	v_fma_f64 v[44:45], v[134:135], s[2:3], v[72:73]
	v_fma_f64 v[72:73], v[134:135], s[4:5], v[72:73]
	v_add_f64 v[36:37], v[36:37], -v[32:33]
	v_fma_f64 v[90:91], v[142:143], -0.5, v[90:91]
	v_fma_f64 v[62:63], v[126:127], -0.5, v[62:63]
	v_add_f64 v[18:19], v[18:19], v[26:27]
	v_add_f64 v[32:33], v[32:33], v[68:69]
	v_fma_f64 v[68:69], v[54:55], s[2:3], v[60:61]
	v_fma_f64 v[54:55], v[54:55], s[4:5], v[60:61]
	;; [unrolled: 1-line block ×4, first 2 shown]
	s_clause 0x1
	scratch_store_b32 off, v181, off offset:4
	scratch_store_b32 off, v180, off
	v_fma_f64 v[74:75], v[136:137], s[2:3], v[28:29]
	v_fma_f64 v[28:29], v[136:137], s[4:5], v[28:29]
	v_add_f64 v[46:47], v[46:47], v[132:133]
	v_add_f64 v[124:125], v[34:35], v[140:141]
	v_fma_f64 v[102:103], v[138:139], s[2:3], v[2:3]
	v_add_f64 v[24:25], v[20:21], v[24:25]
	v_fma_f64 v[2:3], v[138:139], s[4:5], v[2:3]
	v_fma_f64 v[34:35], v[38:39], -0.5, v[30:31]
	v_mad_u32_u24 v132, v204, 24, 0
	v_fma_f64 v[26:27], v[58:59], -0.5, v[26:27]
	v_add_f64 v[38:39], v[16:17], -v[20:21]
	s_load_b64 s[10:11], s[10:11], 0x0
	v_mad_i32_i24 v133, v232, 24, 0
	ds_store_2addr_b64 v132, v[8:9], v[110:111] offset1:1
	ds_store_b64 v132, v[4:5] offset:16
	v_mad_i32_i24 v110, v231, 24, 0
	v_mad_i32_i24 v134, v205, 24, 0
	;; [unrolled: 1-line block ×3, first 2 shown]
	ds_store_2addr_b64 v133, v[10:11], v[14:15] offset1:1
	ds_store_b64 v133, v[0:1] offset:16
	ds_store_2addr_b64 v110, v[108:109], v[118:119] offset1:1
	ds_store_b64 v110, v[106:107] offset:16
	v_mad_i32_i24 v106, v181, 24, 0
	ds_store_2addr_b64 v134, v[128:129], v[86:87] offset1:1
	ds_store_b64 v134, v[94:95] offset:16
	ds_store_2addr_b64 v111, v[96:97], v[100:101] offset1:1
	ds_store_b64 v111, v[84:85] offset:16
	v_mad_i32_i24 v94, v208, 24, 0
	v_mad_i32_i24 v86, v209, 24, 0
	v_fma_f64 v[58:59], v[12:13], s[4:5], v[6:7]
	v_mad_i32_i24 v87, v210, 24, 0
	v_fma_f64 v[126:127], v[12:13], s[2:3], v[6:7]
	ds_store_2addr_b64 v106, v[80:81], v[44:45] offset1:1
	ds_store_b64 v106, v[72:73] offset:16
	v_mad_i32_i24 v95, v214, 24, 0
	v_fma_f64 v[44:45], v[166:167], s[4:5], v[114:115]
	ds_store_2addr_b64 v94, v[122:123], v[68:69] offset1:1
	ds_store_b64 v94, v[54:55] offset:16
	ds_store_2addr_b64 v86, v[56:57], v[60:61] offset1:1
	ds_store_b64 v86, v[48:49] offset:16
	;; [unrolled: 2-line block ×4, first 2 shown]
	v_fma_f64 v[48:49], v[166:167], s[2:3], v[114:115]
	v_fma_f64 v[54:55], v[120:121], s[4:5], v[90:91]
	;; [unrolled: 1-line block ×13, first 2 shown]
	v_and_b32_e32 v200, 0xff, v204
	v_fma_f64 v[50:51], v[36:37], s[4:5], v[34:35]
	v_fma_f64 v[80:81], v[36:37], s[2:3], v[34:35]
	v_add_f64 v[130:131], v[22:23], v[18:19]
	v_fma_f64 v[82:83], v[38:39], s[4:5], v[26:27]
	v_lshlrev_b32_e32 v0, 4, v205
	v_lshlrev_b32_e32 v1, 4, v208
	v_lshl_add_u32 v215, v204, 3, 0
	v_mul_lo_u16 v90, 0xab, v200
	v_and_b32_e32 v201, 0xff, v232
	v_lshlrev_b32_e32 v2, 4, v214
	v_fma_f64 v[84:85], v[38:39], s[2:3], v[26:27]
	v_sub_nc_u32_e32 v233, v134, v0
	v_sub_nc_u32_e32 v234, v94, v1
	v_add_nc_u32_e32 v220, 0x2400, v215
	v_add_nc_u32_e32 v221, 0x3800, v215
	;; [unrolled: 1-line block ×6, first 2 shown]
	v_lshrrev_b16 v240, 9, v90
	v_mul_lo_u16 v90, 0xab, v201
	v_sub_nc_u32_e32 v235, v95, v2
	v_add_nc_u32_e32 v222, 0x3000, v215
	v_add_nc_u32_e32 v225, 0x4800, v215
	v_lshl_add_u32 v227, v231, 3, 0
	v_add_nc_u32_e32 v229, 0x3c00, v215
	v_add_nc_u32_e32 v213, 0x2000, v215
	;; [unrolled: 1-line block ×3, first 2 shown]
	v_lshl_add_u32 v223, v232, 3, 0
	s_waitcnt lgkmcnt(0)
	s_waitcnt_vscnt null, 0x0
	s_barrier
	buffer_gl0_inv
	s_clause 0x2
	scratch_store_b32 off, v0, off offset:20
	scratch_store_b32 off, v1, off offset:24
	;; [unrolled: 1-line block ×3, first 2 shown]
	v_add_nc_u32_e32 v199, 0x800, v215
	ds_load_b64 v[170:171], v234
	ds_load_b64 v[172:173], v235
	ds_load_2addr_b64 v[136:139], v213 offset0:56 offset1:146
	ds_load_2addr_b64 v[8:11], v220 offset0:108 offset1:198
	;; [unrolled: 1-line block ×6, first 2 shown]
	ds_load_b64 v[168:169], v215
	ds_load_b64 v[164:165], v223
	ds_load_2addr_b64 v[12:15], v199 offset0:104 offset1:194
	ds_load_b64 v[174:175], v233
	ds_load_b64 v[166:167], v227
	ds_load_2addr_b64 v[28:31], v198 offset0:118 offset1:208
	ds_load_2addr_b64 v[20:23], v226 offset0:132 offset1:222
	;; [unrolled: 1-line block ×5, first 2 shown]
	s_waitcnt lgkmcnt(0)
	s_waitcnt_vscnt null, 0x0
	s_barrier
	buffer_gl0_inv
	ds_store_2addr_b64 v132, v[116:117], v[58:59] offset1:1
	ds_store_b64 v132, v[126:127] offset:16
	ds_store_2addr_b64 v133, v[112:113], v[44:45] offset1:1
	ds_store_b64 v133, v[48:49] offset:16
	v_mul_lo_u16 v44, v240, 3
	v_lshrrev_b16 v237, 9, v90
	ds_store_2addr_b64 v110, v[104:105], v[54:55] offset1:1
	ds_store_b64 v110, v[56:57] offset:16
	ds_store_2addr_b64 v134, v[88:89], v[60:61] offset1:1
	scratch_store_b32 off, v134, off offset:8 ; 4-byte Folded Spill
	ds_store_b64 v134, v[68:69] offset:16
	v_sub_nc_u16 v44, v204, v44
	v_mul_lo_u16 v45, v237, 3
	ds_store_2addr_b64 v111, v[78:79], v[72:73] offset1:1
	ds_store_b64 v111, v[74:75] offset:16
	ds_store_2addr_b64 v106, v[66:67], v[76:77] offset1:1
	ds_store_b64 v106, v[64:65] offset:16
	ds_store_2addr_b64 v94, v[42:43], v[70:71] offset1:1
	scratch_store_b32 off, v94, off offset:12 ; 4-byte Folded Spill
	v_and_b32_e32 v202, 0xff, v44
	v_sub_nc_u16 v44, v232, v45
	ds_store_b64 v94, v[52:53] offset:16
	ds_store_2addr_b64 v86, v[46:47], v[62:63] offset1:1
	ds_store_b64 v86, v[40:41] offset:16
	ds_store_2addr_b64 v87, v[124:125], v[50:51] offset1:1
	;; [unrolled: 2-line block ×3, first 2 shown]
	scratch_store_b32 off, v95, off offset:16 ; 4-byte Folded Spill
	v_mul_u32_u24_e32 v40, 9, v202
	v_and_b32_e32 v203, 0xff, v44
	ds_store_b64 v95, v[84:85] offset:16
	s_waitcnt lgkmcnt(0)
	s_waitcnt_vscnt null, 0x0
	s_barrier
	v_lshlrev_b32_e32 v96, 4, v40
	v_mul_u32_u24_e32 v40, 9, v203
	buffer_gl0_inv
	v_and_b32_e32 v236, 0xffff, v231
	v_lshlrev_b32_e32 v212, 3, v202
	s_clause 0x1
	global_load_b128 v[176:179], v96, s[8:9] offset:48
	global_load_b128 v[241:244], v96, s[8:9] offset:80
	v_lshlrev_b32_e32 v124, 4, v40
	global_load_b128 v[48:51], v96, s[8:9] offset:112
	v_mul_u32_u24_e32 v40, 0xaaab, v236
	s_mov_b32 s26, 0x134454ff
	s_mov_b32 s27, 0xbfee6f0e
	s_clause 0x2
	global_load_b128 v[180:183], v124, s[8:9] offset:48
	global_load_b128 v[52:55], v124, s[8:9] offset:80
	;; [unrolled: 1-line block ×3, first 2 shown]
	v_lshrrev_b32_e32 v239, 17, v40
	s_mov_b32 s1, 0x3fee6f0e
	s_mov_b32 s0, s26
	;; [unrolled: 1-line block ×4, first 2 shown]
	v_mul_lo_u16 v40, v239, 3
	v_mul_u32_u24_e32 v206, 0xf0, v239
	s_mov_b32 s15, 0x3fe2cf23
	s_mov_b32 s14, s20
	;; [unrolled: 1-line block ×3, first 2 shown]
	v_sub_nc_u16 v40, v231, v40
	s_mov_b32 s17, 0x3fd3c6ef
	s_mov_b32 s24, 0x9b97f4a8
	;; [unrolled: 1-line block ×4, first 2 shown]
	v_and_b32_e32 v238, 0xffff, v40
	s_mov_b32 s22, s16
	s_mov_b32 s19, 0xbfe9e377
	;; [unrolled: 1-line block ×3, first 2 shown]
	s_delay_alu instid0(VALU_DEP_1) | instskip(NEXT) | instid1(VALU_DEP_1)
	v_mul_u32_u24_e32 v40, 9, v238
	v_lshlrev_b32_e32 v132, 4, v40
	s_clause 0x14
	global_load_b128 v[40:43], v124, s[8:9]
	global_load_b128 v[56:59], v132, s[8:9]
	global_load_b128 v[68:71], v124, s[8:9] offset:16
	global_load_b128 v[72:75], v132, s[8:9] offset:16
	;; [unrolled: 1-line block ×8, first 2 shown]
	global_load_b128 v[92:95], v96, s[8:9]
	global_load_b128 v[108:111], v96, s[8:9] offset:16
	global_load_b128 v[120:123], v132, s[8:9] offset:48
	;; [unrolled: 1-line block ×10, first 2 shown]
	ds_load_2addr_b64 v[245:248], v213 offset0:56 offset1:146
	ds_load_2addr_b64 v[152:155], v222 offset0:84 offset1:174
	;; [unrolled: 1-line block ×5, first 2 shown]
	s_waitcnt vmcnt(26) lgkmcnt(4)
	v_mul_f64 v[184:185], v[245:246], v[178:179]
	v_mul_f64 v[186:187], v[136:137], v[178:179]
	s_waitcnt vmcnt(25) lgkmcnt(3)
	v_mul_f64 v[251:252], v[152:153], v[243:244]
	v_mul_f64 v[243:244], v[156:157], v[243:244]
	;; [unrolled: 3-line block ×3, first 2 shown]
	s_waitcnt vmcnt(23)
	v_mul_f64 v[249:250], v[247:248], v[182:183]
	v_mul_f64 v[182:183], v[138:139], v[182:183]
	s_waitcnt vmcnt(22)
	v_mul_f64 v[253:254], v[154:155], v[54:55]
	v_mul_f64 v[196:197], v[158:159], v[54:55]
	;; [unrolled: 3-line block ×3, first 2 shown]
	v_fma_f64 v[178:179], v[136:137], v[176:177], v[184:185]
	v_fma_f64 v[50:51], v[245:246], v[176:177], -v[186:187]
	s_waitcnt vmcnt(20) lgkmcnt(1)
	v_mul_f64 v[184:185], v[144:145], v[42:43]
	v_mul_f64 v[186:187], v[12:13], v[42:43]
	v_fma_f64 v[54:55], v[156:157], v[241:242], v[251:252]
	s_waitcnt vmcnt(18)
	v_mul_f64 v[156:157], v[28:29], v[70:71]
	v_fma_f64 v[42:43], v[152:153], v[241:242], -v[243:244]
	v_fma_f64 v[176:177], v[138:139], v[180:181], v[249:250]
	v_fma_f64 v[46:47], v[247:248], v[180:181], -v[182:183]
	v_mul_f64 v[182:183], v[146:147], v[58:59]
	v_mul_f64 v[180:181], v[14:15], v[58:59]
	ds_load_2addr_b64 v[136:139], v226 offset0:132 offset1:222
	s_waitcnt lgkmcnt(1)
	v_mul_f64 v[152:153], v[140:141], v[70:71]
	v_fma_f64 v[58:59], v[158:159], v[52:53], v[253:254]
	s_waitcnt vmcnt(17)
	v_mul_f64 v[70:71], v[142:143], v[74:75]
	v_and_b32_e32 v158, 0xffff, v240
	v_mul_f64 v[74:75], v[30:31], v[74:75]
	v_fma_f64 v[52:53], v[154:155], v[52:53], -v[196:197]
	ds_load_b64 v[154:155], v235
	ds_load_2addr_b64 v[239:242], v220 offset0:108 offset1:198
	v_fma_f64 v[196:197], v[16:17], v[48:49], v[190:191]
	v_fma_f64 v[48:49], v[148:149], v[48:49], -v[192:193]
	ds_load_2addr_b64 v[190:193], v225 offset0:36 offset1:126
	v_fma_f64 v[16:17], v[150:151], v[44:45], -v[188:189]
	ds_load_2addr_b64 v[148:151], v221 offset0:8 offset1:98
	v_and_b32_e32 v159, 0xffff, v237
	v_mul_u32_u24_e32 v207, 0xf0, v158
	v_fma_f64 v[18:19], v[18:19], v[44:45], v[194:195]
	s_waitcnt vmcnt(15)
	v_mul_f64 v[44:45], v[22:23], v[66:67]
	ds_load_b64 v[188:189], v233
	v_mul_u32_u24_e32 v211, 0xf0, v159
	s_waitcnt lgkmcnt(5)
	v_mul_f64 v[158:159], v[136:137], v[62:63]
	v_mul_f64 v[62:63], v[20:21], v[62:63]
	;; [unrolled: 1-line block ×3, first 2 shown]
	v_fma_f64 v[184:185], v[12:13], v[40:41], v[184:185]
	v_fma_f64 v[40:41], v[144:145], v[40:41], -v[186:187]
	ds_load_b64 v[144:145], v234
	s_waitcnt vmcnt(14)
	v_mul_f64 v[186:187], v[172:173], v[90:91]
	s_waitcnt lgkmcnt(5)
	v_mul_f64 v[90:91], v[154:155], v[90:91]
	v_fma_f64 v[140:141], v[140:141], v[68:69], -v[156:157]
	s_waitcnt vmcnt(11)
	v_mul_f64 v[156:157], v[6:7], v[78:79]
	v_fma_f64 v[182:183], v[14:15], v[56:57], v[182:183]
	v_fma_f64 v[56:57], v[146:147], v[56:57], -v[180:181]
	s_waitcnt lgkmcnt(4)
	v_mul_f64 v[146:147], v[241:242], v[86:87]
	v_mul_f64 v[180:181], v[2:3], v[82:83]
	s_waitcnt lgkmcnt(3)
	v_mul_f64 v[82:83], v[192:193], v[82:83]
	v_mul_f64 v[86:87], v[10:11], v[86:87]
	s_waitcnt lgkmcnt(2)
	v_mul_f64 v[78:79], v[150:151], v[78:79]
	ds_load_2addr_b64 v[12:15], v228 offset0:160 offset1:250
	v_fma_f64 v[152:153], v[28:29], v[68:69], v[152:153]
	v_lshlrev_b32_e32 v28, 3, v203
	v_fma_f64 v[202:203], v[30:31], v[72:73], v[70:71]
	v_fma_f64 v[74:75], v[142:143], v[72:73], -v[74:75]
	ds_load_b64 v[142:143], v227
	ds_load_2addr_b64 v[66:69], v229 offset0:60 offset1:150
	ds_load_2addr_b64 v[70:73], v230 offset0:88 offset1:178
	s_waitcnt vmcnt(10) lgkmcnt(5)
	v_mul_f64 v[243:244], v[188:189], v[94:95]
	v_lshlrev_b32_e32 v31, 3, v238
	s_waitcnt vmcnt(9) lgkmcnt(4)
	v_mul_f64 v[237:238], v[144:145], v[110:111]
	v_mul_f64 v[94:95], v[174:175], v[94:95]
	v_fma_f64 v[44:45], v[138:139], v[64:65], -v[44:45]
	s_waitcnt vmcnt(5)
	v_mul_f64 v[138:139], v[148:149], v[102:103]
	v_mul_f64 v[102:103], v[4:5], v[102:103]
	v_fma_f64 v[20:21], v[20:21], v[60:61], v[158:159]
	v_fma_f64 v[60:61], v[136:137], v[60:61], -v[62:63]
	v_mul_f64 v[62:63], v[239:240], v[122:123]
	v_fma_f64 v[22:23], v[22:23], v[64:65], v[194:195]
	v_add3_u32 v29, 0, v211, v28
	s_waitcnt lgkmcnt(3)
	v_mul_f64 v[136:137], v[12:13], v[118:119]
	v_mul_f64 v[118:119], v[36:37], v[118:119]
	;; [unrolled: 1-line block ×4, first 2 shown]
	v_add3_u32 v28, 0, v206, v31
	v_mul_f64 v[122:123], v[8:9], v[122:123]
	v_mul_f64 v[110:111], v[170:171], v[110:111]
	v_fma_f64 v[154:155], v[154:155], v[88:89], -v[186:187]
	v_fma_f64 v[88:89], v[172:173], v[88:89], v[90:91]
	s_waitcnt vmcnt(4) lgkmcnt(1)
	v_mul_f64 v[90:91], v[66:67], v[106:107]
	v_mul_f64 v[106:107], v[32:33], v[106:107]
	v_add_f64 v[245:246], v[178:179], -v[54:55]
	v_add_f64 v[253:254], v[176:177], v[58:59]
	v_fma_f64 v[10:11], v[10:11], v[84:85], v[146:147]
	v_fma_f64 v[146:147], v[192:193], v[80:81], -v[180:181]
	v_fma_f64 v[2:3], v[2:3], v[80:81], v[82:83]
	s_waitcnt vmcnt(2) lgkmcnt(0)
	v_mul_f64 v[80:81], v[70:71], v[130:131]
	v_mul_f64 v[82:83], v[24:25], v[130:131]
	v_fma_f64 v[84:85], v[241:242], v[84:85], -v[86:87]
	v_mul_f64 v[86:87], v[68:69], v[98:99]
	v_mul_f64 v[98:99], v[34:35], v[98:99]
	v_fma_f64 v[130:131], v[150:151], v[76:77], -v[156:157]
	v_fma_f64 v[6:7], v[6:7], v[76:77], v[78:79]
	s_waitcnt vmcnt(1)
	v_mul_f64 v[76:77], v[190:191], v[126:127]
	s_waitcnt vmcnt(0)
	v_mul_f64 v[150:151], v[72:73], v[134:135]
	v_mul_f64 v[134:135], v[26:27], v[134:135]
	;; [unrolled: 1-line block ×3, first 2 shown]
	v_fma_f64 v[126:127], v[174:175], v[92:93], v[243:244]
	v_fma_f64 v[156:157], v[170:171], v[108:109], v[237:238]
	v_add_f64 v[174:175], v[176:177], -v[152:153]
	v_add_f64 v[180:181], v[58:59], -v[18:19]
	v_fma_f64 v[4:5], v[4:5], v[100:101], v[138:139]
	v_add_f64 v[138:139], v[54:55], -v[196:197]
	v_add_f64 v[218:219], v[152:153], v[18:19]
	v_add3_u32 v30, 0, v207, v212
	v_fma_f64 v[8:9], v[8:9], v[120:121], v[62:63]
	v_fma_f64 v[36:37], v[36:37], v[116:117], v[136:137]
	v_fma_f64 v[12:13], v[12:13], v[116:117], -v[118:119]
	v_fma_f64 v[38:39], v[38:39], v[112:113], v[64:65]
	v_fma_f64 v[14:15], v[14:15], v[112:113], -v[114:115]
	v_fma_f64 v[64:65], v[188:189], v[92:93], -v[94:95]
	;; [unrolled: 1-line block ×5, first 2 shown]
	v_add_f64 v[144:145], v[152:153], -v[176:177]
	v_fma_f64 v[31:32], v[32:33], v[104:105], v[90:91]
	v_fma_f64 v[66:67], v[66:67], v[104:105], -v[106:107]
	v_add_f64 v[104:105], v[178:179], v[54:55]
	v_add_f64 v[148:149], v[18:19], -v[58:59]
	v_fma_f64 v[253:254], v[253:254], -0.5, v[164:165]
	v_add_f64 v[106:107], v[154:155], -v[146:147]
	v_add_f64 v[94:95], v[88:89], -v[2:3]
	v_fma_f64 v[24:25], v[24:25], v[128:129], v[80:81]
	v_fma_f64 v[70:71], v[70:71], v[128:129], -v[82:83]
	v_add_f64 v[100:101], v[154:155], -v[84:85]
	v_fma_f64 v[33:34], v[34:35], v[96:97], v[86:87]
	v_fma_f64 v[68:69], v[68:69], v[96:97], -v[98:99]
	v_add_f64 v[102:103], v[146:147], -v[130:131]
	v_add_f64 v[82:83], v[88:89], v[2:3]
	v_fma_f64 v[0:1], v[0:1], v[124:125], v[76:77]
	v_fma_f64 v[26:27], v[26:27], v[132:133], v[150:151]
	v_fma_f64 v[72:73], v[72:73], v[132:133], -v[134:135]
	v_add_f64 v[86:87], v[10:11], v[6:7]
	v_fma_f64 v[76:77], v[190:191], v[124:125], -v[78:79]
	v_add_f64 v[78:79], v[154:155], v[146:147]
	v_add_f64 v[80:81], v[84:85], v[130:131]
	v_add_f64 v[96:97], v[88:89], -v[10:11]
	v_add_f64 v[98:99], v[2:3], -v[6:7]
	;; [unrolled: 1-line block ×4, first 2 shown]
	v_add_f64 v[116:117], v[156:157], v[196:197]
	v_add_f64 v[118:119], v[126:127], v[88:89]
	v_add_f64 v[88:89], v[10:11], -v[88:89]
	v_add_f64 v[120:121], v[6:7], -v[2:3]
	v_add_f64 v[122:123], v[168:169], v[156:157]
	v_add_f64 v[132:133], v[156:157], -v[178:179]
	v_add_f64 v[134:135], v[196:197], -v[54:55]
	;; [unrolled: 1-line block ×12, first 2 shown]
	v_add_f64 v[154:155], v[64:65], v[154:155]
	v_fma_f64 v[104:105], v[104:105], -0.5, v[168:169]
	v_add_f64 v[144:145], v[144:145], v[148:149]
	v_add_f64 v[158:159], v[24:25], -v[31:32]
	v_add_f64 v[172:173], v[70:71], -v[66:67]
	;; [unrolled: 1-line block ×5, first 2 shown]
	v_add_f64 v[100:101], v[100:101], v[102:103]
	v_add_f64 v[102:103], v[12:13], v[66:67]
	v_add_f64 v[237:238], v[0:1], -v[4:5]
	v_add_f64 v[251:252], v[4:5], -v[0:1]
	;; [unrolled: 1-line block ×4, first 2 shown]
	v_fma_f64 v[82:83], v[82:83], -0.5, v[126:127]
	v_fma_f64 v[86:87], v[86:87], -0.5, v[126:127]
	v_add_f64 v[126:127], v[60:61], v[70:71]
	v_fma_f64 v[78:79], v[78:79], -0.5, v[64:65]
	v_fma_f64 v[64:65], v[80:81], -0.5, v[64:65]
	v_add_f64 v[80:81], v[38:39], -v[22:23]
	v_add_f64 v[96:97], v[96:97], v[98:99]
	v_add_f64 v[98:99], v[33:34], -v[26:27]
	v_add_f64 v[112:113], v[112:113], v[114:115]
	v_add_f64 v[114:115], v[164:165], v[152:153]
	v_fma_f64 v[116:117], v[116:117], -0.5, v[168:169]
	v_add_f64 v[168:169], v[20:21], v[24:25]
	v_add_f64 v[10:11], v[118:119], v[10:11]
	;; [unrolled: 1-line block ×11, first 2 shown]
	v_add_f64 v[20:21], v[20:21], -v[24:25]
	v_add_f64 v[174:175], v[174:175], v[180:181]
	v_add_f64 v[180:181], v[108:109], -v[50:51]
	v_fma_f64 v[164:165], v[218:219], -0.5, v[164:165]
	v_add_f64 v[218:219], v[176:177], -v[58:59]
	v_add_f64 v[150:151], v[150:151], v[158:159]
	v_add_f64 v[158:159], v[14:15], v[68:69]
	;; [unrolled: 1-line block ×3, first 2 shown]
	v_add_f64 v[172:173], v[68:69], -v[72:73]
	v_add_f64 v[190:191], v[190:191], v[192:193]
	v_add_f64 v[192:193], v[8:9], v[4:5]
	v_fma_f64 v[102:103], v[102:103], -0.5, v[40:41]
	v_add_f64 v[194:195], v[194:195], v[237:238]
	v_add_f64 v[237:238], v[202:203], v[0:1]
	;; [unrolled: 1-line block ×7, first 2 shown]
	v_add_f64 v[241:242], v[36:37], -v[31:32]
	v_fma_f64 v[126:127], v[126:127], -0.5, v[40:41]
	v_add_f64 v[186:187], v[186:187], v[188:189]
	v_add_f64 v[188:189], v[48:49], -v[42:43]
	v_add_f64 v[40:41], v[40:41], v[60:61]
	v_add_f64 v[60:61], v[60:61], -v[70:71]
	;; [unrolled: 2-line block ×3, first 2 shown]
	v_fma_f64 v[168:169], v[168:169], -0.5, v[184:185]
	v_add_f64 v[22:23], v[22:23], -v[26:27]
	v_add_f64 v[35:36], v[118:119], v[36:37]
	v_add_f64 v[118:119], v[8:9], -v[4:5]
	v_fma_f64 v[120:121], v[120:121], -0.5, v[184:185]
	v_add_f64 v[184:185], v[38:39], -v[33:34]
	v_add_f64 v[8:9], v[178:179], v[8:9]
	v_add_f64 v[80:81], v[80:81], v[98:99]
	;; [unrolled: 1-line block ×3, first 2 shown]
	v_fma_f64 v[98:99], v[90:91], s[26:27], v[78:79]
	v_fma_f64 v[138:139], v[138:139], -0.5, v[56:57]
	v_fma_f64 v[78:79], v[90:91], s[0:1], v[78:79]
	v_add_f64 v[110:111], v[84:85], -v[130:131]
	v_add_f64 v[124:125], v[50:51], -v[42:43]
	;; [unrolled: 1-line block ×4, first 2 shown]
	v_add_f64 v[54:55], v[122:123], v[54:55]
	v_fma_f64 v[158:159], v[158:159], -0.5, v[56:57]
	v_add_f64 v[56:57], v[56:57], v[44:45]
	v_add_f64 v[148:149], v[148:149], v[172:173]
	v_fma_f64 v[172:173], v[94:95], s[0:1], v[64:65]
	v_fma_f64 v[64:65], v[94:95], s[26:27], v[64:65]
	v_fma_f64 v[192:193], v[192:193], -0.5, v[166:167]
	v_add_f64 v[44:45], v[44:45], -v[72:73]
	v_fma_f64 v[166:167], v[237:238], -0.5, v[166:167]
	v_add_f64 v[84:85], v[154:155], v[84:85]
	v_fma_f64 v[237:238], v[247:248], -0.5, v[182:183]
	v_add_f64 v[6:7], v[10:11], v[6:7]
	v_fma_f64 v[182:183], v[251:252], -0.5, v[182:183]
	v_fma_f64 v[251:252], v[20:21], s[0:1], v[102:103]
	v_fma_f64 v[102:103], v[20:21], s[26:27], v[102:103]
	;; [unrolled: 1-line block ×4, first 2 shown]
	v_add_f64 v[180:181], v[180:181], v[188:189]
	v_fma_f64 v[188:189], v[106:107], s[26:27], v[86:87]
	v_fma_f64 v[86:87], v[106:107], s[0:1], v[86:87]
	v_add_f64 v[58:59], v[114:115], v[58:59]
	v_add_f64 v[134:135], v[140:141], -v[16:17]
	v_fma_f64 v[122:123], v[176:177], s[0:1], v[168:169]
	v_fma_f64 v[168:169], v[176:177], s[26:27], v[168:169]
	v_add_f64 v[31:32], v[35:36], v[31:32]
	v_add_f64 v[156:157], v[156:157], -v[196:197]
	v_fma_f64 v[35:36], v[60:61], s[26:27], v[120:121]
	v_fma_f64 v[114:115], v[60:61], s[0:1], v[120:121]
	v_add_f64 v[120:121], v[14:15], -v[68:69]
	v_add_f64 v[4:5], v[8:9], v[4:5]
	v_add_f64 v[33:34], v[37:38], v[33:34]
	v_fma_f64 v[98:99], v[94:95], s[14:15], v[98:99]
	v_fma_f64 v[8:9], v[184:185], s[26:27], v[138:139]
	v_fma_f64 v[138:139], v[184:185], s[0:1], v[138:139]
	v_fma_f64 v[78:79], v[94:95], s[20:21], v[78:79]
	v_fma_f64 v[154:155], v[110:111], s[0:1], v[82:83]
	v_fma_f64 v[82:83], v[110:111], s[26:27], v[82:83]
	v_fma_f64 v[10:11], v[124:125], s[0:1], v[116:117]
	v_fma_f64 v[116:117], v[124:125], s[26:27], v[116:117]
	v_fma_f64 v[37:38], v[22:23], s[0:1], v[158:159]
	v_fma_f64 v[158:159], v[22:23], s[26:27], v[158:159]
	v_add_f64 v[94:95], v[50:51], v[42:43]
	v_fma_f64 v[172:173], v[90:91], s[14:15], v[172:173]
	v_fma_f64 v[64:65], v[90:91], s[20:21], v[64:65]
	v_add_f64 v[90:91], v[108:109], v[48:49]
	v_add_f64 v[54:55], v[54:55], v[196:197]
	;; [unrolled: 1-line block ×3, first 2 shown]
	v_add_f64 v[152:153], v[152:153], -v[18:19]
	v_add_f64 v[202:203], v[202:203], -v[0:1]
	v_add_f64 v[2:3], v[6:7], v[2:3]
	v_add_f64 v[12:13], v[40:41], v[12:13]
	v_fma_f64 v[251:252], v[241:242], s[14:15], v[251:252]
	v_fma_f64 v[102:103], v[241:242], s[20:21], v[102:103]
	;; [unrolled: 1-line block ×4, first 2 shown]
	v_add_f64 v[126:127], v[62:63], -v[92:93]
	v_fma_f64 v[188:189], v[110:111], s[20:21], v[188:189]
	v_fma_f64 v[86:87], v[110:111], s[14:15], v[86:87]
	ds_load_b64 v[110:111], v223
	v_fma_f64 v[241:242], v[128:129], s[26:27], v[104:105]
	v_fma_f64 v[104:105], v[128:129], s[0:1], v[104:105]
	;; [unrolled: 1-line block ×24, first 2 shown]
	v_add_f64 v[128:129], v[74:75], -v[76:77]
	v_fma_f64 v[237:238], v[44:45], s[0:1], v[237:238]
	v_fma_f64 v[64:65], v[100:101], s[16:17], v[64:65]
	ds_load_b64 v[106:107], v215
	v_add_f64 v[172:173], v[42:43], -v[48:49]
	v_add_f64 v[100:101], v[46:47], v[52:53]
	v_fma_f64 v[251:252], v[170:171], s[16:17], v[251:252]
	v_fma_f64 v[102:103], v[170:171], s[16:17], v[102:103]
	;; [unrolled: 1-line block ×7, first 2 shown]
	v_add_f64 v[190:191], v[140:141], v[16:17]
	v_fma_f64 v[241:242], v[124:125], s[20:21], v[241:242]
	v_fma_f64 v[104:105], v[124:125], s[14:15], v[104:105]
	;; [unrolled: 1-line block ×10, first 2 shown]
	s_waitcnt lgkmcnt(0)
	v_fma_f64 v[94:95], v[94:95], -0.5, v[106:107]
	v_fma_f64 v[8:9], v[148:149], s[16:17], v[8:9]
	v_fma_f64 v[22:23], v[148:149], s[16:17], v[22:23]
	;; [unrolled: 1-line block ×4, first 2 shown]
	v_mul_f64 v[148:149], v[98:99], s[26:27]
	v_fma_f64 v[154:155], v[88:89], s[16:17], v[154:155]
	v_fma_f64 v[82:83], v[88:89], s[16:17], v[82:83]
	;; [unrolled: 1-line block ×6, first 2 shown]
	v_mul_f64 v[96:97], v[112:113], s[20:21]
	v_mul_f64 v[158:159], v[78:79], s[26:27]
	v_fma_f64 v[164:165], v[128:129], s[26:27], v[192:193]
	v_fma_f64 v[192:193], v[128:129], s[0:1], v[192:193]
	;; [unrolled: 1-line block ×3, first 2 shown]
	v_mul_f64 v[188:189], v[64:65], s[20:21]
	v_fma_f64 v[90:91], v[90:91], -0.5, v[106:107]
	v_add_f64 v[106:107], v[106:107], v[108:109]
	v_mul_f64 v[150:151], v[251:252], s[20:21]
	v_mul_f64 v[243:244], v[102:103], s[20:21]
	;; [unrolled: 1-line block ×4, first 2 shown]
	v_add_f64 v[108:109], v[50:51], -v[108:109]
	v_add_f64 v[253:254], v[62:63], v[92:93]
	v_add_f64 v[170:171], v[110:111], v[140:141]
	;; [unrolled: 1-line block ×4, first 2 shown]
	v_fma_f64 v[6:7], v[128:129], s[20:21], v[6:7]
	v_fma_f64 v[128:129], v[128:129], s[14:15], v[166:167]
	;; [unrolled: 1-line block ×10, first 2 shown]
	v_add_f64 v[58:59], v[142:143], v[74:75]
	v_fma_f64 v[100:101], v[100:101], -0.5, v[110:111]
	v_fma_f64 v[138:139], v[80:81], s[16:17], v[138:139]
	v_fma_f64 v[44:45], v[80:81], s[16:17], v[44:45]
	v_add_f64 v[124:125], v[140:141], -v[46:47]
	v_fma_f64 v[148:149], v[154:155], s[16:17], v[148:149]
	v_add_f64 v[140:141], v[46:47], -v[140:141]
	v_add_f64 v[0:1], v[4:5], v[0:1]
	v_mul_f64 v[241:242], v[88:89], s[20:21]
	v_fma_f64 v[168:169], v[239:240], s[16:17], v[182:183]
	v_mul_f64 v[182:183], v[8:9], s[26:27]
	v_fma_f64 v[96:97], v[184:185], s[24:25], v[96:97]
	v_fma_f64 v[158:159], v[82:83], s[22:23], v[158:159]
	;; [unrolled: 1-line block ×5, first 2 shown]
	v_mul_f64 v[120:121], v[37:38], s[20:21]
	v_mul_f64 v[239:240], v[22:23], s[26:27]
	v_fma_f64 v[188:189], v[86:87], s[18:19], v[188:189]
	v_fma_f64 v[150:151], v[35:36], s[24:25], v[150:151]
	v_add_f64 v[50:51], v[106:107], v[50:51]
	v_fma_f64 v[178:179], v[122:123], s[16:17], v[186:187]
	v_fma_f64 v[186:187], v[60:61], s[22:23], v[237:238]
	;; [unrolled: 1-line block ×3, first 2 shown]
	v_add_f64 v[106:107], v[108:109], v[172:173]
	v_fma_f64 v[108:109], v[190:191], -0.5, v[110:111]
	v_fma_f64 v[39:40], v[253:254], -0.5, v[142:143]
	;; [unrolled: 1-line block ×3, first 2 shown]
	v_add_f64 v[46:47], v[170:171], v[46:47]
	v_fma_f64 v[142:143], v[156:157], s[0:1], v[94:95]
	v_fma_f64 v[170:171], v[245:246], s[26:27], v[90:91]
	v_fma_f64 v[90:91], v[245:246], s[0:1], v[90:91]
	v_add_f64 v[4:5], v[33:34], v[26:27]
	v_add_f64 v[26:27], v[54:55], v[2:3]
	;; [unrolled: 1-line block ×3, first 2 shown]
	v_add_f64 v[18:19], v[18:19], -v[24:25]
	v_fma_f64 v[24:25], v[249:250], s[16:17], v[128:129]
	v_add_f64 v[14:15], v[56:57], v[14:15]
	v_fma_f64 v[56:57], v[156:157], s[26:27], v[94:95]
	v_add_f64 v[2:3], v[54:55], -v[2:3]
	v_fma_f64 v[6:7], v[249:250], s[16:17], v[6:7]
	v_add_f64 v[31:32], v[74:75], -v[62:63]
	v_add_f64 v[74:75], v[62:63], -v[74:75]
	v_add_f64 v[190:191], v[10:11], v[148:149]
	v_add_f64 v[10:11], v[10:11], -v[148:149]
	v_add_f64 v[166:167], v[16:17], -v[52:53]
	;; [unrolled: 1-line block ×3, first 2 shown]
	v_add_f64 v[58:59], v[58:59], v[62:63]
	v_fma_f64 v[128:129], v[138:139], s[16:17], v[182:183]
	v_add_f64 v[182:183], v[136:137], v[96:97]
	v_add_f64 v[96:97], v[136:137], -v[96:97]
	v_fma_f64 v[54:55], v[194:195], s[16:17], v[164:165]
	v_fma_f64 v[126:127], v[194:195], s[16:17], v[126:127]
	v_add_f64 v[194:195], v[116:117], v[158:159]
	v_fma_f64 v[120:121], v[168:169], s[24:25], v[120:121]
	v_fma_f64 v[164:165], v[44:45], s[22:23], v[239:240]
	v_add_f64 v[196:197], v[104:105], v[188:189]
	v_fma_f64 v[172:173], v[80:81], s[18:19], v[241:242]
	v_add_f64 v[116:117], v[116:117], -v[158:159]
	v_add_f64 v[104:105], v[104:105], -v[188:189]
	v_add_f64 v[136:137], v[176:177], v[150:151]
	v_add_f64 v[148:149], v[132:133], v[178:179]
	;; [unrolled: 1-line block ×4, first 2 shown]
	v_add_f64 v[150:151], v[176:177], -v[150:151]
	v_add_f64 v[132:133], v[132:133], -v[178:179]
	v_add_f64 v[62:63], v[84:85], v[130:131]
	v_add_f64 v[41:42], v[50:51], v[42:43]
	v_fma_f64 v[50:51], v[152:153], s[0:1], v[100:101]
	v_fma_f64 v[84:85], v[152:153], s[26:27], v[100:101]
	;; [unrolled: 1-line block ×4, first 2 shown]
	v_add_f64 v[174:175], v[76:77], -v[92:93]
	v_fma_f64 v[108:109], v[202:203], s[0:1], v[39:40]
	v_add_f64 v[243:244], v[92:93], -v[76:77]
	v_fma_f64 v[130:131], v[118:119], s[26:27], v[110:111]
	v_fma_f64 v[110:111], v[118:119], s[0:1], v[110:111]
	;; [unrolled: 1-line block ×3, first 2 shown]
	s_barrier
	buffer_gl0_inv
	v_fma_f64 v[142:143], v[245:246], s[14:15], v[142:143]
	v_fma_f64 v[170:171], v[156:157], s[14:15], v[170:171]
	;; [unrolled: 1-line block ×3, first 2 shown]
	v_add_f64 v[156:157], v[0:1], v[4:5]
	v_add_f64 v[0:1], v[0:1], -v[4:5]
	v_mul_f64 v[4:5], v[112:113], s[24:25]
	v_add_f64 v[112:113], v[134:135], -v[186:187]
	v_add_f64 v[134:135], v[144:145], -v[237:238]
	ds_store_2addr_b64 v30, v[26:27], v[182:183] offset1:3
	ds_store_2addr_b64 v30, v[190:191], v[194:195] offset0:6 offset1:9
	ds_store_2addr_b64 v30, v[196:197], v[2:3] offset0:12 offset1:15
	;; [unrolled: 1-line block ×4, first 2 shown]
	ds_store_2addr_b64 v29, v[33:34], v[136:137] offset1:3
	ds_store_2addr_b64 v29, v[148:149], v[158:159] offset0:6 offset1:9
	ds_store_2addr_b64 v29, v[188:189], v[18:19] offset0:12 offset1:15
	;; [unrolled: 1-line block ×3, first 2 shown]
	v_fma_f64 v[18:19], v[245:246], s[20:21], v[56:57]
	v_mul_f64 v[26:27], v[64:65], s[18:19]
	v_add_f64 v[144:145], v[54:55], v[120:121]
	v_mul_f64 v[2:3], v[98:99], s[16:17]
	v_mul_f64 v[10:11], v[78:79], s[22:23]
	v_add_f64 v[54:55], v[54:55], -v[120:121]
	v_add_f64 v[120:121], v[6:7], v[128:129]
	v_add_f64 v[6:7], v[6:7], -v[128:129]
	v_add_f64 v[128:129], v[24:25], v[164:165]
	;; [unrolled: 2-line block ×4, first 2 shown]
	v_fma_f64 v[50:51], v[218:219], s[14:15], v[50:51]
	v_fma_f64 v[56:57], v[218:219], s[20:21], v[84:85]
	v_add_f64 v[46:47], v[46:47], v[52:53]
	v_add_f64 v[52:53], v[140:141], v[192:193]
	v_fma_f64 v[64:65], v[152:153], s[14:15], v[94:95]
	v_add_f64 v[12:13], v[12:13], v[66:67]
	v_mul_f64 v[66:67], v[251:252], s[24:25]
	v_mul_f64 v[84:85], v[247:248], s[16:17]
	v_fma_f64 v[78:79], v[152:153], s[20:21], v[100:101]
	v_mul_f64 v[20:21], v[20:21], s[22:23]
	v_mul_f64 v[96:97], v[102:103], s[18:19]
	v_add_f64 v[31:32], v[31:32], v[174:175]
	v_fma_f64 v[94:95], v[118:119], s[14:15], v[108:109]
	v_add_f64 v[58:59], v[58:59], v[92:93]
	v_add_f64 v[14:15], v[14:15], v[68:69]
	v_mul_f64 v[37:38], v[37:38], s[24:25]
	v_add_f64 v[74:75], v[74:75], v[243:244]
	v_fma_f64 v[92:93], v[202:203], s[14:15], v[130:131]
	v_fma_f64 v[68:69], v[202:203], s[20:21], v[110:111]
	v_mul_f64 v[8:9], v[8:9], s[16:17]
	v_mul_f64 v[22:23], v[22:23], s[22:23]
	v_fma_f64 v[39:40], v[118:119], s[20:21], v[39:40]
	v_mul_f64 v[88:89], v[88:89], s[18:19]
	ds_store_2addr_b64 v29, v[112:113], v[134:135] offset0:24 offset1:27
	ds_store_2addr_b64 v28, v[156:157], v[144:145] offset1:3
	ds_store_2addr_b64 v28, v[120:121], v[128:129] offset0:6 offset1:9
	ds_store_2addr_b64 v28, v[164:165], v[0:1] offset0:12 offset1:15
	;; [unrolled: 1-line block ×4, first 2 shown]
	v_add_f64 v[24:25], v[62:63], v[146:147]
	v_fma_f64 v[54:55], v[184:185], s[14:15], v[4:5]
	v_add_f64 v[41:42], v[41:42], v[48:49]
	v_fma_f64 v[48:49], v[180:181], s[16:17], v[142:143]
	v_fma_f64 v[18:19], v[180:181], s[16:17], v[18:19]
	;; [unrolled: 1-line block ×7, first 2 shown]
	v_add_f64 v[16:17], v[46:47], v[16:17]
	v_fma_f64 v[46:47], v[33:34], s[16:17], v[50:51]
	v_fma_f64 v[33:34], v[33:34], s[16:17], v[56:57]
	v_add_f64 v[12:13], v[12:13], v[70:71]
	v_fma_f64 v[50:51], v[52:53], s[16:17], v[64:65]
	v_fma_f64 v[35:36], v[35:36], s[14:15], v[66:67]
	;; [unrolled: 1-line block ×6, first 2 shown]
	v_add_f64 v[58:59], v[58:59], v[76:77]
	v_fma_f64 v[64:65], v[31:32], s[16:17], v[94:95]
	v_add_f64 v[14:15], v[14:15], v[72:73]
	v_fma_f64 v[37:38], v[168:169], s[14:15], v[37:38]
	v_fma_f64 v[66:67], v[74:75], s[16:17], v[92:93]
	;; [unrolled: 1-line block ×7, first 2 shown]
	s_waitcnt lgkmcnt(0)
	s_barrier
	buffer_gl0_inv
	ds_load_b64 v[136:137], v234
	ds_load_b64 v[202:203], v235
	;; [unrolled: 1-line block ×6, first 2 shown]
	ds_load_2addr_b64 v[96:99], v213 offset0:56 offset1:146
	ds_load_2addr_b64 v[0:3], v220 offset0:108 offset1:198
	;; [unrolled: 1-line block ×4, first 2 shown]
	v_add_f64 v[43:44], v[41:42], v[24:25]
	v_add_f64 v[70:71], v[48:49], v[54:55]
	v_add_f64 v[41:42], v[41:42], -v[24:25]
	v_add_f64 v[76:77], v[18:19], v[26:27]
	v_add_f64 v[48:49], v[48:49], -v[54:55]
	v_add_f64 v[78:79], v[18:19], -v[26:27]
	v_add_f64 v[72:73], v[62:63], v[104:105]
	v_add_f64 v[74:75], v[90:91], v[10:11]
	v_add_f64 v[54:55], v[62:63], -v[104:105]
	v_add_f64 v[62:63], v[90:91], -v[10:11]
	v_add_f64 v[80:81], v[16:17], v[12:13]
	v_add_f64 v[82:83], v[16:17], -v[12:13]
	v_add_f64 v[84:85], v[46:47], v[35:36]
	;; [unrolled: 2-line block ×4, first 2 shown]
	v_add_f64 v[86:87], v[33:34], v[60:61]
	v_add_f64 v[52:53], v[52:53], -v[20:21]
	v_add_f64 v[33:34], v[33:34], -v[60:61]
	v_add_f64 v[60:61], v[58:59], v[14:15]
	v_add_f64 v[88:89], v[64:65], v[37:38]
	v_add_f64 v[37:38], v[64:65], -v[37:38]
	v_add_f64 v[90:91], v[66:67], v[8:9]
	v_add_f64 v[92:93], v[68:69], v[22:23]
	v_add_f64 v[68:69], v[68:69], -v[22:23]
	v_add_f64 v[64:65], v[31:32], v[39:40]
	v_add_f64 v[31:32], v[31:32], -v[39:40]
	v_add_f64 v[58:59], v[58:59], -v[14:15]
	;; [unrolled: 1-line block ×3, first 2 shown]
	v_mul_lo_u16 v39, 0x89, v200
	v_mul_lo_u16 v40, 0x89, v201
	ds_load_2addr_b64 v[110:113], v224 offset0:112 offset1:202
	ds_load_2addr_b64 v[8:11], v225 offset0:36 offset1:126
	;; [unrolled: 1-line block ×8, first 2 shown]
	s_waitcnt lgkmcnt(0)
	v_lshrrev_b16 v238, 12, v39
	v_lshrrev_b16 v239, 12, v40
	s_barrier
	buffer_gl0_inv
	ds_store_2addr_b64 v30, v[43:44], v[70:71] offset1:3
	ds_store_2addr_b64 v30, v[72:73], v[74:75] offset0:6 offset1:9
	v_mul_lo_u16 v39, v238, 30
	ds_store_2addr_b64 v30, v[76:77], v[41:42] offset0:12 offset1:15
	ds_store_2addr_b64 v30, v[48:49], v[54:55] offset0:18 offset1:21
	;; [unrolled: 1-line block ×3, first 2 shown]
	v_mul_lo_u16 v30, v239, 30
	ds_store_2addr_b64 v29, v[80:81], v[84:85] offset1:3
	ds_store_2addr_b64 v29, v[45:46], v[56:57] offset0:6 offset1:9
	ds_store_2addr_b64 v29, v[86:87], v[82:83] offset0:12 offset1:15
	v_sub_nc_u16 v39, v204, v39
	v_sub_nc_u16 v30, v232, v30
	ds_store_2addr_b64 v29, v[35:36], v[50:51] offset0:18 offset1:21
	ds_store_2addr_b64 v29, v[52:53], v[33:34] offset0:24 offset1:27
	ds_store_2addr_b64 v28, v[60:61], v[88:89] offset1:3
	ds_store_2addr_b64 v28, v[90:91], v[92:93] offset0:6 offset1:9
	ds_store_2addr_b64 v28, v[64:65], v[58:59] offset0:12 offset1:15
	ds_store_2addr_b64 v28, v[37:38], v[66:67] offset0:18 offset1:21
	v_and_b32_e32 v240, 0xff, v39
	v_and_b32_e32 v241, 0xff, v30
	ds_store_2addr_b64 v28, v[68:69], v[31:32] offset0:24 offset1:27
	s_waitcnt lgkmcnt(0)
	s_barrier
	v_mul_u32_u24_e32 v29, 9, v240
	v_mul_u32_u24_e32 v30, 9, v241
	buffer_gl0_inv
	v_mul_u32_u24_e32 v28, 0x8889, v236
	v_lshlrev_b32_e32 v84, 4, v29
	v_lshlrev_b32_e32 v68, 4, v30
	s_delay_alu instid0(VALU_DEP_3)
	v_lshrrev_b32_e32 v236, 20, v28
	s_clause 0x5
	global_load_b128 v[104:107], v84, s[8:9] offset:480
	global_load_b128 v[138:141], v84, s[8:9] offset:512
	;; [unrolled: 1-line block ×6, first 2 shown]
	v_mul_lo_u16 v28, v236, 30
	global_load_b128 v[176:179], v68, s[8:9] offset:432
	v_sub_nc_u16 v28, v231, v28
	s_delay_alu instid0(VALU_DEP_1) | instskip(NEXT) | instid1(VALU_DEP_1)
	v_and_b32_e32 v237, 0xffff, v28
	v_mul_u32_u24_e32 v28, 9, v237
	s_delay_alu instid0(VALU_DEP_1)
	v_lshlrev_b32_e32 v80, 4, v28
	s_clause 0x13
	global_load_b128 v[180:183], v80, s[8:9] offset:432
	global_load_b128 v[192:195], v68, s[8:9] offset:448
	;; [unrolled: 1-line block ×20, first 2 shown]
	ds_load_2addr_b64 v[154:157], v213 offset0:56 offset1:146
	ds_load_2addr_b64 v[184:187], v222 offset0:84 offset1:174
	;; [unrolled: 1-line block ×5, first 2 shown]
	ds_load_b64 v[170:171], v235
	s_waitcnt vmcnt(26) lgkmcnt(5)
	v_mul_f64 v[108:109], v[154:155], v[106:107]
	v_mul_f64 v[106:107], v[96:97], v[106:107]
	s_waitcnt vmcnt(24)
	v_mul_f64 v[118:119], v[156:157], v[116:117]
	v_mul_f64 v[116:117], v[98:99], v[116:117]
	s_waitcnt lgkmcnt(4)
	v_mul_f64 v[142:143], v[184:185], v[140:141]
	v_mul_f64 v[140:141], v[100:101], v[140:141]
	s_waitcnt vmcnt(23)
	v_mul_f64 v[152:153], v[186:187], v[146:147]
	v_mul_f64 v[146:147], v[102:103], v[146:147]
	s_waitcnt vmcnt(21) lgkmcnt(3)
	v_mul_f64 v[218:219], v[190:191], v[174:175]
	v_mul_f64 v[196:197], v[188:189], v[166:167]
	;; [unrolled: 1-line block ×4, first 2 shown]
	s_waitcnt vmcnt(20) lgkmcnt(2)
	v_mul_f64 v[250:251], v[246:247], v[178:179]
	v_mul_f64 v[178:179], v[124:125], v[178:179]
	s_waitcnt vmcnt(19)
	v_mul_f64 v[252:253], v[248:249], v[182:183]
	v_mul_f64 v[182:183], v[126:127], v[182:183]
	s_waitcnt vmcnt(18) lgkmcnt(1)
	v_mul_f64 v[254:255], v[198:199], v[194:195]
	s_waitcnt vmcnt(17)
	v_mul_f64 v[206:207], v[200:201], v[244:245]
	v_mul_f64 v[211:212], v[120:121], v[194:195]
	;; [unrolled: 1-line block ×3, first 2 shown]
	s_waitcnt vmcnt(16) lgkmcnt(0)
	v_mul_f64 v[216:217], v[170:171], v[54:55]
	v_mul_f64 v[194:195], v[202:203], v[54:55]
	v_fma_f64 v[150:151], v[96:97], v[104:105], v[108:109]
	v_fma_f64 v[154:155], v[154:155], v[104:105], -v[106:107]
	v_fma_f64 v[148:149], v[98:99], v[114:115], v[118:119]
	ds_load_2addr_b64 v[96:99], v226 offset0:132 offset1:222
	v_fma_f64 v[158:159], v[156:157], v[114:115], -v[116:117]
	v_fma_f64 v[156:157], v[100:101], v[138:139], v[142:143]
	v_fma_f64 v[142:143], v[184:185], v[138:139], -v[140:141]
	v_fma_f64 v[152:153], v[102:103], v[144:145], v[152:153]
	ds_load_2addr_b64 v[100:103], v220 offset0:108 offset1:198
	v_fma_f64 v[140:141], v[186:187], v[144:145], -v[146:147]
	ds_load_2addr_b64 v[104:107], v228 offset0:160 offset1:250
	ds_load_b64 v[168:169], v234
	v_fma_f64 v[144:145], v[112:113], v[172:173], v[218:219]
	ds_load_2addr_b64 v[112:115], v225 offset0:36 offset1:126
	v_fma_f64 v[138:139], v[188:189], v[164:165], -v[166:167]
	v_fma_f64 v[146:147], v[110:111], v[164:165], v[196:197]
	v_fma_f64 v[54:55], v[190:191], v[172:173], -v[174:175]
	s_waitcnt vmcnt(15)
	v_mul_f64 v[190:191], v[24:25], v[46:47]
	v_fma_f64 v[166:167], v[124:125], v[176:177], v[250:251]
	v_fma_f64 v[164:165], v[246:247], v[176:177], -v[178:179]
	v_fma_f64 v[126:127], v[126:127], v[180:181], v[252:253]
	s_waitcnt vmcnt(13)
	v_mul_f64 v[186:187], v[2:3], v[42:43]
	s_waitcnt vmcnt(11)
	v_mul_f64 v[174:175], v[6:7], v[34:35]
	;; [unrolled: 2-line block ×3, first 2 shown]
	s_waitcnt lgkmcnt(4)
	v_mul_f64 v[188:189], v[96:97], v[46:47]
	v_fma_f64 v[46:47], v[248:249], v[180:181], -v[182:183]
	v_mul_f64 v[182:183], v[16:17], v[38:39]
	ds_load_2addr_b64 v[108:111], v221 offset0:8 offset1:98
	ds_load_2addr_b64 v[116:119], v229 offset0:60 offset1:150
	s_waitcnt lgkmcnt(5)
	v_mul_f64 v[184:185], v[102:103], v[42:43]
	s_waitcnt lgkmcnt(4)
	v_mul_f64 v[180:181], v[104:105], v[38:39]
	v_fma_f64 v[38:39], v[120:121], v[192:193], v[254:255]
	v_fma_f64 v[42:43], v[122:123], v[242:243], v[206:207]
	s_waitcnt lgkmcnt(2)
	v_mul_f64 v[176:177], v[114:115], v[50:51]
	ds_load_2addr_b64 v[120:123], v230 offset0:88 offset1:178
	v_fma_f64 v[124:125], v[198:199], v[192:193], -v[211:212]
	s_waitcnt vmcnt(8)
	v_mul_f64 v[192:193], v[168:169], v[58:59]
	v_mul_f64 v[196:197], v[98:99], v[30:31]
	v_fma_f64 v[50:51], v[202:203], v[52:53], v[216:217]
	v_fma_f64 v[52:53], v[170:171], v[52:53], -v[194:195]
	v_mul_f64 v[30:31], v[26:27], v[30:31]
	s_waitcnt vmcnt(7)
	v_mul_f64 v[170:171], v[100:101], v[62:63]
	v_mul_f64 v[62:63], v[0:1], v[62:63]
	;; [unrolled: 1-line block ×3, first 2 shown]
	v_mul_u32_u24_e32 v248, 0x960, v236
	v_lshlrev_b32_e32 v249, 3, v237
	s_waitcnt lgkmcnt(2)
	v_mul_f64 v[172:173], v[110:111], v[34:35]
	v_fma_f64 v[34:35], v[200:201], v[242:243], -v[244:245]
	s_waitcnt lgkmcnt(1)
	v_mul_f64 v[198:199], v[116:117], v[94:95]
	v_mul_f64 v[200:201], v[12:13], v[94:95]
	ds_load_b64 v[94:95], v233
	ds_load_b64 v[202:203], v227
	v_add_f64 v[242:243], v[142:143], -v[138:139]
	v_fma_f64 v[110:111], v[110:111], v[32:33], -v[174:175]
	s_waitcnt vmcnt(2)
	v_mul_f64 v[174:175], v[112:113], v[78:79]
	v_fma_f64 v[24:25], v[24:25], v[44:45], v[188:189]
	s_waitcnt lgkmcnt(2)
	v_mul_f64 v[188:189], v[120:121], v[90:91]
	v_fma_f64 v[44:45], v[96:97], v[44:45], -v[190:191]
	v_mul_f64 v[96:97], v[106:107], v[66:67]
	v_mul_f64 v[66:67], v[18:19], v[66:67]
	v_fma_f64 v[184:185], v[2:3], v[40:41], v[184:185]
	v_fma_f64 v[40:41], v[102:103], v[40:41], -v[186:187]
	v_mul_f64 v[102:103], v[108:109], v[74:75]
	v_fma_f64 v[16:17], v[16:17], v[36:37], v[180:181]
	v_fma_f64 v[36:37], v[104:105], v[36:37], -v[182:183]
	v_mul_f64 v[104:105], v[118:119], v[70:71]
	v_mul_f64 v[70:71], v[14:15], v[70:71]
	v_fma_f64 v[176:177], v[10:11], v[48:49], v[176:177]
	v_fma_f64 v[2:3], v[114:115], v[48:49], -v[178:179]
	v_mul_f64 v[48:49], v[8:9], v[78:79]
	s_waitcnt vmcnt(1)
	v_mul_f64 v[78:79], v[22:23], v[82:83]
	v_mul_f64 v[90:91], v[20:21], v[90:91]
	;; [unrolled: 1-line block ×4, first 2 shown]
	v_fma_f64 v[114:115], v[136:137], v[56:57], v[192:193]
	v_fma_f64 v[26:27], v[26:27], v[28:29], v[196:197]
	v_fma_f64 v[28:29], v[98:99], v[28:29], -v[30:31]
	v_fma_f64 v[30:31], v[0:1], v[60:61], v[170:171]
	v_fma_f64 v[172:173], v[6:7], v[32:33], v[172:173]
	v_fma_f64 v[60:61], v[100:101], v[60:61], -v[62:63]
	v_fma_f64 v[82:83], v[12:13], v[92:93], v[198:199]
	v_fma_f64 v[10:11], v[116:117], v[92:93], -v[200:201]
	s_waitcnt vmcnt(0) lgkmcnt(1)
	v_mul_f64 v[92:93], v[94:95], v[86:87]
	v_mul_f64 v[86:87], v[134:135], v[86:87]
	v_and_b32_e32 v6, 0xffff, v238
	v_and_b32_e32 v7, 0xffff, v239
	v_lshlrev_b32_e32 v32, 3, v240
	v_lshlrev_b32_e32 v116, 3, v241
	v_fma_f64 v[56:57], v[168:169], v[56:57], -v[58:59]
	v_mul_u32_u24_e32 v12, 0x960, v6
	v_mul_u32_u24_e32 v13, 0x960, v7
	v_add_f64 v[100:101], v[38:39], -v[148:149]
	v_fma_f64 v[98:99], v[8:9], v[76:77], v[174:175]
	v_add_f64 v[238:239], v[138:139], -v[142:143]
	v_fma_f64 v[20:21], v[20:21], v[88:89], v[188:189]
	v_add3_u32 v33, 0, v12, v32
	v_fma_f64 v[18:19], v[18:19], v[64:65], v[96:97]
	v_fma_f64 v[62:63], v[106:107], v[64:65], -v[66:67]
	v_add3_u32 v32, 0, v13, v116
	v_add_f64 v[66:67], v[146:147], -v[156:157]
	v_fma_f64 v[96:97], v[4:5], v[72:73], v[102:103]
	v_add_f64 v[102:103], v[144:145], -v[152:153]
	v_add_f64 v[116:117], v[16:17], -v[24:25]
	v_fma_f64 v[14:15], v[14:15], v[68:69], v[104:105]
	v_fma_f64 v[8:9], v[118:119], v[68:69], -v[70:71]
	v_add_f64 v[68:69], v[50:51], -v[184:185]
	v_add_f64 v[104:105], v[24:25], -v[16:17]
	v_fma_f64 v[4:5], v[112:113], v[76:77], -v[48:49]
	v_fma_f64 v[0:1], v[122:123], v[80:81], -v[78:79]
	;; [unrolled: 1-line block ×4, first 2 shown]
	v_fma_f64 v[22:23], v[22:23], v[80:81], v[180:181]
	v_add_f64 v[58:59], v[114:115], -v[150:151]
	v_add_f64 v[72:73], v[52:53], -v[40:41]
	;; [unrolled: 1-line block ×8, first 2 shown]
	v_fma_f64 v[48:49], v[134:135], v[84:85], v[92:93]
	v_fma_f64 v[64:65], v[94:95], v[84:85], -v[86:87]
	v_add_f64 v[86:87], v[40:41], -v[52:53]
	v_add_f64 v[92:93], v[110:111], -v[2:3]
	;; [unrolled: 1-line block ×5, first 2 shown]
	v_add_f64 v[94:95], v[150:151], v[156:157]
	v_add_f64 v[108:109], v[44:45], -v[36:37]
	v_add_f64 v[134:135], v[36:37], -v[44:45]
	;; [unrolled: 1-line block ×3, first 2 shown]
	v_add_f64 v[180:181], v[114:115], v[146:147]
	v_add_f64 v[106:107], v[20:21], -v[82:83]
	v_add_f64 v[218:219], v[56:57], -v[154:155]
	;; [unrolled: 1-line block ×8, first 2 shown]
	v_add_f64 v[246:247], v[16:17], v[82:83]
	v_add_f64 v[118:119], v[82:83], -v[20:21]
	v_add_f64 v[182:183], v[184:185], v[172:173]
	v_add_f64 v[186:187], v[50:51], v[176:177]
	v_add_f64 v[192:193], v[18:19], -v[26:27]
	ds_load_b64 v[88:89], v215
	ds_load_b64 v[90:91], v223
	v_add_f64 v[190:191], v[0:1], -v[8:9]
	v_add_f64 v[112:113], v[6:7], -v[10:11]
	v_add_f64 v[136:137], v[10:11], -v[6:7]
	v_add_f64 v[178:179], v[22:23], -v[14:15]
	v_add_f64 v[206:207], v[8:9], -v[0:1]
	v_add_f64 v[58:59], v[58:59], v[66:67]
	v_add_f64 v[66:67], v[24:25], v[20:21]
	;; [unrolled: 1-line block ×9, first 2 shown]
	v_add_f64 v[194:195], v[14:15], -v[22:23]
	v_add_f64 v[86:87], v[86:87], v[92:93]
	v_add_f64 v[92:93], v[52:53], v[2:3]
	;; [unrolled: 1-line block ×3, first 2 shown]
	v_add_f64 v[244:245], v[184:185], -v[172:173]
	v_add_f64 v[76:77], v[76:77], v[78:79]
	v_add_f64 v[78:79], v[166:167], v[24:25]
	;; [unrolled: 1-line block ×7, first 2 shown]
	v_add_f64 v[102:103], v[16:17], -v[82:83]
	v_fma_f64 v[94:95], v[94:95], -0.5, v[132:133]
	v_fma_f64 v[132:133], v[180:181], -0.5, v[132:133]
	v_add_f64 v[180:181], v[154:155], -v[142:143]
	v_add_f64 v[196:197], v[196:197], v[198:199]
	v_add_f64 v[198:199], v[130:131], v[38:39]
	v_add_f64 v[168:169], v[168:169], v[170:171]
	v_add_f64 v[170:171], v[56:57], v[138:139]
	v_add_f64 v[50:51], v[50:51], -v[176:177]
	v_add_f64 v[218:219], v[218:219], v[238:239]
	v_add_f64 v[238:239], v[54:55], -v[140:141]
	v_add_f64 v[240:241], v[240:241], v[242:243]
	v_add_f64 v[188:189], v[188:189], v[190:191]
	;; [unrolled: 1-line block ×8, first 2 shown]
	s_waitcnt lgkmcnt(1)
	v_add_f64 v[178:179], v[88:89], v[56:57]
	v_add_f64 v[200:201], v[200:201], v[206:207]
	;; [unrolled: 1-line block ×4, first 2 shown]
	v_fma_f64 v[246:247], v[246:247], -0.5, v[166:167]
	v_add_f64 v[184:185], v[216:217], v[184:185]
	v_add_f64 v[216:217], v[124:125], -v[158:159]
	v_fma_f64 v[66:67], v[66:67], -0.5, v[166:167]
	v_add_f64 v[166:167], v[124:125], v[54:55]
	v_fma_f64 v[92:93], v[92:93], -0.5, v[64:65]
	v_fma_f64 v[70:71], v[70:71], -0.5, v[126:127]
	v_fma_f64 v[74:75], v[74:75], -0.5, v[126:127]
	v_fma_f64 v[122:123], v[122:123], -0.5, v[164:165]
	v_add_f64 v[126:127], v[62:63], v[8:9]
	v_add_f64 v[116:117], v[116:117], v[118:119]
	v_add_f64 v[118:119], v[40:41], -v[110:111]
	v_fma_f64 v[182:183], v[182:183], -0.5, v[48:49]
	v_fma_f64 v[48:49], v[186:187], -0.5, v[48:49]
	;; [unrolled: 1-line block ×3, first 2 shown]
	v_add_f64 v[106:107], v[164:165], v[44:45]
	v_add_f64 v[186:187], v[148:149], v[152:153]
	;; [unrolled: 1-line block ×4, first 2 shown]
	v_add_f64 v[24:25], v[24:25], -v[20:21]
	v_add_f64 v[198:199], v[198:199], v[148:149]
	v_add_f64 v[16:17], v[78:79], v[16:17]
	s_waitcnt lgkmcnt(0)
	v_add_f64 v[78:79], v[90:91], v[124:125]
	v_add_f64 v[211:212], v[211:212], v[150:151]
	;; [unrolled: 1-line block ×3, first 2 shown]
	v_add_f64 v[18:19], v[18:19], -v[14:15]
	v_add_f64 v[56:57], v[56:57], -v[138:139]
	;; [unrolled: 1-line block ×3, first 2 shown]
	v_fma_f64 v[164:165], v[190:191], -0.5, v[164:165]
	v_add_f64 v[190:191], v[36:37], -v[10:11]
	v_add_f64 v[40:41], v[112:113], v[40:41]
	v_add_f64 v[112:113], v[158:159], -v[124:125]
	v_fma_f64 v[136:137], v[136:137], -0.5, v[88:89]
	v_fma_f64 v[88:89], v[170:171], -0.5, v[88:89]
	v_add_f64 v[170:171], v[140:141], -v[54:55]
	v_add_f64 v[154:155], v[178:179], v[154:155]
	v_fma_f64 v[178:179], v[180:181], s[0:1], v[132:133]
	v_fma_f64 v[132:133], v[180:181], s[26:27], v[132:133]
	v_add_f64 v[26:27], v[26:27], -v[22:23]
	v_fma_f64 v[242:243], v[242:243], -0.5, v[90:91]
	v_add_f64 v[216:217], v[216:217], v[238:239]
	v_fma_f64 v[206:207], v[206:207], -0.5, v[46:47]
	v_fma_f64 v[90:91], v[166:167], -0.5, v[90:91]
	v_fma_f64 v[238:239], v[244:245], s[26:27], v[92:93]
	v_fma_f64 v[92:93], v[244:245], s[0:1], v[92:93]
	v_add_f64 v[44:45], v[44:45], -v[6:7]
	v_add_f64 v[148:149], v[148:149], -v[152:153]
	v_fma_f64 v[126:127], v[126:127], -0.5, v[46:47]
	v_add_f64 v[150:151], v[150:151], -v[156:157]
	v_add_f64 v[172:173], v[184:185], v[172:173]
	v_add_f64 v[184:185], v[62:63], -v[8:9]
	v_add_f64 v[124:125], v[124:125], -v[54:55]
	v_fma_f64 v[166:167], v[50:51], s[0:1], v[64:65]
	v_fma_f64 v[64:65], v[50:51], s[26:27], v[64:65]
	v_add_f64 v[36:37], v[106:107], v[36:37]
	v_fma_f64 v[106:107], v[102:103], s[26:27], v[122:123]
	v_fma_f64 v[122:123], v[102:103], s[0:1], v[122:123]
	v_fma_f64 v[186:187], v[186:187], -0.5, v[130:131]
	v_fma_f64 v[130:131], v[194:195], -0.5, v[130:131]
	v_fma_f64 v[194:195], v[118:119], s[0:1], v[48:49]
	v_fma_f64 v[48:49], v[118:119], s[26:27], v[48:49]
	v_add_f64 v[152:153], v[198:199], v[152:153]
	v_add_f64 v[156:157], v[211:212], v[156:157]
	;; [unrolled: 1-line block ×4, first 2 shown]
	v_fma_f64 v[82:83], v[56:57], s[26:27], v[94:95]
	v_fma_f64 v[198:199], v[24:25], s[0:1], v[164:165]
	;; [unrolled: 1-line block ×4, first 2 shown]
	v_add_f64 v[78:79], v[78:79], v[158:159]
	v_add_f64 v[158:159], v[158:159], -v[140:141]
	v_add_f64 v[46:47], v[46:47], v[28:29]
	v_add_f64 v[112:113], v[112:113], v[170:171]
	;; [unrolled: 1-line block ×3, first 2 shown]
	v_fma_f64 v[178:179], v[56:57], s[20:21], v[178:179]
	v_fma_f64 v[56:57], v[56:57], s[14:15], v[132:133]
	;; [unrolled: 1-line block ×4, first 2 shown]
	v_add_f64 v[28:29], v[28:29], -v[0:1]
	v_add_f64 v[114:115], v[114:115], -v[146:147]
	;; [unrolled: 1-line block ×3, first 2 shown]
	v_fma_f64 v[238:239], v[50:51], s[14:15], v[238:239]
	v_fma_f64 v[50:51], v[50:51], s[20:21], v[92:93]
	;; [unrolled: 1-line block ×4, first 2 shown]
	v_add_f64 v[14:15], v[84:85], v[14:15]
	v_add_f64 v[40:41], v[40:41], v[110:111]
	v_add_f64 v[84:85], v[12:13], -v[4:5]
	v_fma_f64 v[166:167], v[244:245], s[14:15], v[166:167]
	v_fma_f64 v[64:65], v[244:245], s[20:21], v[64:65]
	;; [unrolled: 1-line block ×12, first 2 shown]
	v_fma_f64 v[211:212], v[211:212], -0.5, v[128:129]
	v_fma_f64 v[236:237], v[124:125], s[26:27], v[186:187]
	v_fma_f64 v[198:199], v[102:103], s[14:15], v[198:199]
	;; [unrolled: 1-line block ×3, first 2 shown]
	v_add_f64 v[164:165], v[60:61], -v[12:13]
	v_fma_f64 v[186:187], v[124:125], s[0:1], v[186:187]
	v_fma_f64 v[82:83], v[180:181], s[20:21], v[82:83]
	;; [unrolled: 1-line block ×3, first 2 shown]
	v_add_f64 v[16:17], v[16:17], v[20:21]
	v_fma_f64 v[170:171], v[170:171], -0.5, v[128:129]
	v_add_f64 v[128:129], v[128:129], v[42:43]
	v_add_f64 v[144:145], v[152:153], v[144:145]
	v_fma_f64 v[132:133], v[118:119], s[20:21], v[132:133]
	v_fma_f64 v[118:119], v[118:119], s[14:15], v[182:183]
	v_add_f64 v[182:183], v[34:35], -v[4:5]
	v_fma_f64 v[152:153], v[76:77], s[16:17], v[178:179]
	v_fma_f64 v[56:57], v[76:77], s[16:17], v[56:57]
	;; [unrolled: 1-line block ×6, first 2 shown]
	v_add_f64 v[14:15], v[14:15], v[22:23]
	v_add_f64 v[42:43], v[42:43], -v[98:99]
	v_add_f64 v[180:181], v[34:35], -v[60:61]
	v_add_f64 v[78:79], v[78:79], v[140:141]
	v_add3_u32 v246, 0, v248, v249
	v_fma_f64 v[86:87], v[72:73], s[16:17], v[166:167]
	v_fma_f64 v[64:65], v[72:73], s[16:17], v[64:65]
	;; [unrolled: 1-line block ×21, first 2 shown]
	v_add_f64 v[72:73], v[60:61], v[12:13]
	v_add_f64 v[128:129], v[128:129], v[30:31]
	v_add_f64 v[30:31], v[30:31], -v[96:97]
	v_add_f64 v[166:167], v[34:35], v[4:5]
	v_fma_f64 v[58:59], v[58:59], s[16:17], v[94:95]
	v_add_f64 v[108:109], v[202:203], v[34:35]
	scratch_load_b32 v249, off, off offset:4 ; 4-byte Folded Reload
	v_add_nc_u32_e32 v247, 0x400, v33
	s_waitcnt vmcnt(0)
	s_barrier
	v_fma_f64 v[92:93], v[104:105], s[16:17], v[92:93]
	v_fma_f64 v[104:105], v[104:105], s[16:17], v[190:191]
	buffer_gl0_inv
	v_add_f64 v[34:35], v[60:61], -v[34:35]
	v_add_f64 v[46:47], v[46:47], v[62:63]
	v_add_f64 v[62:63], v[154:155], v[142:143]
	v_fma_f64 v[110:111], v[114:115], s[0:1], v[136:137]
	v_fma_f64 v[136:137], v[114:115], s[26:27], v[136:137]
	;; [unrolled: 1-line block ×11, first 2 shown]
	v_mul_f64 v[118:119], v[86:87], s[20:21]
	v_fma_f64 v[66:67], v[124:125], s[20:21], v[66:67]
	v_fma_f64 v[124:125], v[124:125], s[14:15], v[130:131]
	;; [unrolled: 1-line block ×11, first 2 shown]
	v_mul_f64 v[132:133], v[238:239], s[26:27]
	v_mul_f64 v[188:189], v[50:51], s[26:27]
	v_fma_f64 v[52:53], v[116:117], s[16:17], v[52:53]
	v_fma_f64 v[44:45], v[116:117], s[16:17], v[44:45]
	v_mul_f64 v[116:117], v[64:65], s[20:21]
	v_mul_f64 v[190:191], v[134:135], s[20:21]
	;; [unrolled: 1-line block ×5, first 2 shown]
	v_add_f64 v[96:97], v[128:129], v[96:97]
	v_add_f64 v[128:129], v[156:157], v[146:147]
	;; [unrolled: 1-line block ×3, first 2 shown]
	v_fma_f64 v[72:73], v[72:73], -0.5, v[202:203]
	v_fma_f64 v[166:167], v[166:167], -0.5, v[202:203]
	v_add_f64 v[202:203], v[4:5], -v[12:13]
	v_add_f64 v[60:61], v[108:109], v[60:61]
	v_fma_f64 v[108:109], v[150:151], s[26:27], v[88:89]
	v_fma_f64 v[88:89], v[150:151], s[0:1], v[88:89]
	;; [unrolled: 1-line block ×3, first 2 shown]
	v_mul_f64 v[176:177], v[26:27], s[26:27]
	v_mul_f64 v[86:87], v[86:87], s[24:25]
	v_fma_f64 v[28:29], v[192:193], s[16:17], v[28:29]
	v_mul_f64 v[172:173], v[74:75], s[20:21]
	v_mul_f64 v[64:65], v[64:65], s[18:19]
	v_add_f64 v[10:11], v[36:37], v[10:11]
	v_mul_f64 v[36:37], v[134:135], s[24:25]
	v_fma_f64 v[82:83], v[80:81], s[24:25], v[118:119]
	v_fma_f64 v[66:67], v[120:121], s[16:17], v[66:67]
	;; [unrolled: 1-line block ×11, first 2 shown]
	v_mul_f64 v[174:175], v[184:185], s[26:27]
	v_fma_f64 v[94:95], v[122:123], s[16:17], v[132:133]
	v_fma_f64 v[118:119], v[48:49], s[22:23], v[188:189]
	;; [unrolled: 1-line block ×3, first 2 shown]
	v_mul_f64 v[178:179], v[18:19], s[20:21]
	v_fma_f64 v[116:117], v[68:69], s[18:19], v[116:117]
	v_fma_f64 v[132:133], v[92:93], s[24:25], v[190:191]
	;; [unrolled: 1-line block ×5, first 2 shown]
	v_add_f64 v[22:23], v[96:97], v[98:99]
	v_fma_f64 v[188:189], v[148:149], s[26:27], v[90:91]
	v_add_f64 v[96:97], v[128:129], v[146:147]
	v_add_f64 v[128:129], v[128:129], -v[146:147]
	v_add_f64 v[146:147], v[144:145], v[16:17]
	v_add_f64 v[16:17], v[144:145], -v[16:17]
	v_fma_f64 v[90:91], v[148:149], s[0:1], v[90:91]
	v_fma_f64 v[190:191], v[42:43], s[0:1], v[72:73]
	;; [unrolled: 1-line block ×10, first 2 shown]
	v_mul_f64 v[24:25], v[24:25], s[22:23]
	v_add_f64 v[144:145], v[76:77], v[82:83]
	v_add_f64 v[76:77], v[76:77], -v[82:83]
	v_mul_f64 v[50:51], v[50:51], s[22:23]
	v_fma_f64 v[20:21], v[196:197], s[16:17], v[20:21]
	v_fma_f64 v[98:99], v[196:197], s[16:17], v[130:131]
	v_add_f64 v[12:13], v[60:61], v[12:13]
	v_fma_f64 v[130:131], v[168:169], s[16:17], v[156:157]
	v_fma_f64 v[156:157], v[168:169], s[16:17], v[164:165]
	;; [unrolled: 1-line block ×4, first 2 shown]
	v_add_f64 v[34:35], v[34:35], v[84:85]
	v_fma_f64 v[164:165], v[170:171], s[16:17], v[174:175]
	v_add_f64 v[174:175], v[152:153], v[94:95]
	v_add_f64 v[176:177], v[56:57], v[118:119]
	v_add_f64 v[82:83], v[152:153], -v[94:95]
	v_add_f64 v[56:57], v[56:57], -v[118:119]
	v_add_f64 v[94:95], v[58:59], v[116:117]
	v_add_f64 v[58:59], v[58:59], -v[116:117]
	v_add_f64 v[116:117], v[124:125], v[132:133]
	v_add_f64 v[118:119], v[66:67], v[158:159]
	;; [unrolled: 1-line block ×3, first 2 shown]
	v_fma_f64 v[172:173], v[70:71], s[18:19], v[178:179]
	v_add_f64 v[178:179], v[100:101], v[186:187]
	ds_store_2addr_b64 v33, v[96:97], v[144:145] offset1:30
	ds_store_2addr_b64 v33, v[174:175], v[176:177] offset0:60 offset1:90
	ds_store_2addr_b64 v33, v[94:95], v[128:129] offset0:120 offset1:150
	;; [unrolled: 1-line block ×4, first 2 shown]
	ds_store_2addr_b64 v32, v[146:147], v[116:117] offset1:30
	ds_store_2addr_b64 v32, v[118:119], v[152:153] offset0:60 offset1:90
	ds_store_2addr_b64 v32, v[178:179], v[16:17] offset0:120 offset1:150
	v_add_f64 v[56:57], v[180:181], v[202:203]
	scratch_load_b32 v203, off, off         ; 4-byte Folded Reload
	v_fma_f64 v[148:149], v[38:39], s[14:15], v[188:189]
	v_add_f64 v[150:151], v[22:23], v[14:15]
	v_add_f64 v[14:15], v[22:23], -v[14:15]
	v_add_f64 v[22:23], v[124:125], -v[132:133]
	;; [unrolled: 1-line block ×3, first 2 shown]
	v_fma_f64 v[16:17], v[38:39], s[20:21], v[90:91]
	v_mul_f64 v[38:39], v[106:107], s[16:17]
	v_add_f64 v[120:121], v[120:121], -v[182:183]
	v_add_f64 v[100:101], v[100:101], -v[186:187]
	v_mul_f64 v[158:159], v[238:239], s[16:17]
	v_mul_f64 v[76:77], v[102:103], s[18:19]
	v_add_f64 v[124:125], v[130:131], v[140:141]
	v_add_f64 v[130:131], v[130:131], -v[140:141]
	v_add_f64 v[132:133], v[20:21], v[164:165]
	v_add_f64 v[140:141], v[98:99], v[168:169]
	;; [unrolled: 1-line block ×3, first 2 shown]
	v_add_f64 v[20:21], v[20:21], -v[164:165]
	v_fma_f64 v[58:59], v[30:31], s[14:15], v[190:191]
	v_fma_f64 v[30:31], v[30:31], s[20:21], v[72:73]
	v_add_f64 v[8:9], v[46:47], v[8:9]
	v_fma_f64 v[46:47], v[42:43], s[14:15], v[192:193]
	v_mul_f64 v[60:61], v[74:75], s[24:25]
	v_fma_f64 v[42:43], v[42:43], s[20:21], v[166:167]
	v_mul_f64 v[26:27], v[26:27], s[22:23]
	v_mul_f64 v[18:19], v[18:19], s[18:19]
	;; [unrolled: 1-line block ×3, first 2 shown]
	v_add_nc_u32_e32 v248, 0x400, v32
	ds_store_2addr_b64 v32, v[22:23], v[66:67] offset0:180 offset1:210
	ds_store_2addr_b64 v248, v[120:121], v[100:101] offset0:112 offset1:142
	ds_store_2addr_b64 v246, v[150:151], v[124:125] offset1:30
	ds_store_2addr_b64 v246, v[132:133], v[140:141] offset0:60 offset1:90
	ds_store_2addr_b64 v246, v[154:155], v[14:15] offset0:120 offset1:150
	;; [unrolled: 1-line block ×3, first 2 shown]
	v_add_f64 v[2:3], v[40:41], v[2:3]
	v_fma_f64 v[14:15], v[80:81], s[14:15], v[86:87]
	v_add_f64 v[20:21], v[62:63], v[138:139]
	v_fma_f64 v[22:23], v[218:219], s[16:17], v[110:111]
	v_fma_f64 v[64:65], v[68:69], s[14:15], v[64:65]
	;; [unrolled: 1-line block ×3, first 2 shown]
	v_add_f64 v[6:7], v[10:11], v[6:7]
	v_fma_f64 v[10:11], v[112:113], s[16:17], v[148:149]
	v_fma_f64 v[36:37], v[92:93], s[14:15], v[36:37]
	;; [unrolled: 1-line block ×9, first 2 shown]
	v_add_f64 v[54:55], v[78:79], v[54:55]
	v_fma_f64 v[74:75], v[216:217], s[16:17], v[142:143]
	v_fma_f64 v[44:45], v[104:105], s[14:15], v[76:77]
	v_fma_f64 v[50:51], v[218:219], s[16:17], v[114:115]
	v_add_f64 v[4:5], v[12:13], v[4:5]
	v_fma_f64 v[12:13], v[56:57], s[16:17], v[58:59]
	v_fma_f64 v[30:31], v[56:57], s[16:17], v[30:31]
	v_add_f64 v[0:1], v[8:9], v[0:1]
	v_fma_f64 v[8:9], v[34:35], s[16:17], v[46:47]
	v_fma_f64 v[46:47], v[126:127], s[14:15], v[60:61]
	;; [unrolled: 1-line block ×6, first 2 shown]
	v_add_f64 v[98:99], v[98:99], -v[168:169]
	v_add_f64 v[156:157], v[156:157], -v[172:173]
	v_add_nc_u32_e32 v102, 0x400, v246
	v_dual_mov_b32 v112, 0 :: v_dual_lshlrev_b32 v111, 1, v204
	v_lshl_add_u32 v175, v209, 3, 0
	v_lshl_add_u32 v176, v210, 3, 0
	v_add_f64 v[56:57], v[20:21], v[2:3]
	v_add_f64 v[58:59], v[22:23], v[14:15]
	v_add_f64 v[72:73], v[20:21], -v[2:3]
	v_add_f64 v[78:79], v[22:23], -v[14:15]
	v_add_f64 v[82:83], v[68:69], v[36:37]
	v_add_f64 v[36:37], v[68:69], -v[36:37]
	v_add_f64 v[68:69], v[10:11], v[38:39]
	v_add_f64 v[84:85], v[16:17], v[24:25]
	v_add_f64 v[38:39], v[10:11], -v[38:39]
	v_add_f64 v[86:87], v[16:17], -v[24:25]
	v_add_f64 v[60:61], v[40:41], v[66:67]
	v_add_f64 v[70:71], v[62:63], v[48:49]
	v_add_f64 v[80:81], v[54:55], -v[6:7]
	;; [unrolled: 4-line block ×3, first 2 shown]
	v_add_f64 v[62:63], v[62:63], -v[48:49]
	v_add_f64 v[64:65], v[50:51], -v[64:65]
	v_add_f64 v[66:67], v[54:55], v[6:7]
	v_add_f64 v[74:75], v[4:5], v[0:1]
	;; [unrolled: 1-line block ×3, first 2 shown]
	v_add_f64 v[90:91], v[4:5], -v[0:1]
	v_add_f64 v[96:97], v[34:35], v[26:27]
	v_add_f64 v[34:35], v[34:35], -v[26:27]
	v_add_f64 v[100:101], v[30:31], -v[18:19]
	v_add_f64 v[94:95], v[8:9], v[42:43]
	ds_store_2addr_b64 v102, v[98:99], v[156:157] offset0:112 offset1:142
	v_add_f64 v[98:99], v[30:31], v[18:19]
	v_add_f64 v[46:47], v[12:13], -v[46:47]
	v_add_f64 v[42:43], v[8:9], -v[42:43]
	s_waitcnt vmcnt(0) lgkmcnt(0)
	s_barrier
	buffer_gl0_inv
	v_lshl_add_u32 v174, v249, 3, 0
	v_lshl_add_u32 v168, v203, 3, 0
	ds_load_b64 v[131:132], v215
	ds_load_b64 v[129:130], v223
	;; [unrolled: 1-line block ×10, first 2 shown]
	ds_load_2addr_b64 v[52:55], v226 offset0:132 offset1:222
	ds_load_2addr_b64 v[48:51], v221 offset0:8 offset1:98
	;; [unrolled: 1-line block ×10, first 2 shown]
	s_waitcnt lgkmcnt(0)
	s_barrier
	buffer_gl0_inv
	ds_store_2addr_b64 v33, v[56:57], v[58:59] offset1:30
	ds_store_2addr_b64 v33, v[60:61], v[70:71] offset0:60 offset1:90
	ds_store_2addr_b64 v33, v[76:77], v[72:73] offset0:120 offset1:150
	;; [unrolled: 1-line block ×4, first 2 shown]
	ds_store_2addr_b64 v32, v[66:67], v[82:83] offset1:30
	ds_store_2addr_b64 v32, v[68:69], v[84:85] offset0:60 offset1:90
	ds_store_2addr_b64 v32, v[88:89], v[80:81] offset0:120 offset1:150
	;; [unrolled: 1-line block ×4, first 2 shown]
	v_lshlrev_b64 v[32:33], 4, v[111:112]
	v_dual_mov_b32 v37, v112 :: v_dual_lshlrev_b32 v36, 1, v232
	ds_store_2addr_b64 v246, v[74:75], v[92:93] offset1:30
	ds_store_2addr_b64 v246, v[94:95], v[96:97] offset0:60 offset1:90
	ds_store_2addr_b64 v246, v[98:99], v[90:91] offset0:120 offset1:150
	;; [unrolled: 1-line block ×4, first 2 shown]
	v_subrev_nc_u32_e32 v40, 30, v204
	v_add_co_u32 v133, s0, s8, v32
	s_delay_alu instid0(VALU_DEP_1) | instskip(SKIP_1) | instid1(VALU_DEP_3)
	v_add_co_ci_u32_e64 v134, s0, s9, v33, s0
	v_lshlrev_b64 v[32:33], 4, v[36:37]
	v_add_co_u32 v34, s0, 0x1000, v133
	s_delay_alu instid0(VALU_DEP_1) | instskip(SKIP_1) | instid1(VALU_DEP_4)
	v_add_co_ci_u32_e64 v35, s0, 0, v134, s0
	v_lshlrev_b32_e32 v38, 1, v231
	v_add_co_u32 v135, s0, s8, v32
	s_delay_alu instid0(VALU_DEP_1) | instskip(SKIP_1) | instid1(VALU_DEP_3)
	v_add_co_ci_u32_e64 v136, s0, s9, v33, s0
	v_mov_b32_e32 v39, v112
	v_add_co_u32 v32, s0, 0x1000, v135
	s_delay_alu instid0(VALU_DEP_1) | instskip(SKIP_1) | instid1(VALU_DEP_1)
	v_add_co_ci_u32_e64 v33, s0, 0, v136, s0
	v_add_co_u32 v36, s0, 0x1290, v133
	v_add_co_ci_u32_e64 v37, s0, 0, v134, s0
	v_cmp_gt_u32_e64 s0, 30, v204
	v_mov_b32_e32 v61, v112
	v_lshlrev_b64 v[58:59], 4, v[38:39]
	s_waitcnt lgkmcnt(0)
	s_barrier
	v_cndmask_b32_e64 v144, v40, v205, s0
	v_add_co_u32 v56, s0, 0x1290, v135
	s_delay_alu instid0(VALU_DEP_1) | instskip(NEXT) | instid1(VALU_DEP_3)
	v_add_co_ci_u32_e64 v57, s0, 0, v136, s0
	v_lshlrev_b32_e32 v60, 1, v144
	buffer_gl0_inv
	s_clause 0x3
	global_load_b128 v[44:47], v[34:35], off offset:656
	global_load_b128 v[36:39], v[36:37], off offset:16
	;; [unrolled: 1-line block ×4, first 2 shown]
	v_add_co_u32 v137, s0, s8, v58
	v_lshlrev_b64 v[56:57], 4, v[60:61]
	v_add_co_ci_u32_e64 v138, s0, s9, v59, s0
	v_add_nc_u32_e32 v60, 0x78, v111
	v_lshrrev_b16 v66, 2, v208
	v_add_nc_u32_e32 v111, 0x12c, v111
	v_add_co_u32 v64, s0, s8, v56
	s_delay_alu instid0(VALU_DEP_1) | instskip(SKIP_1) | instid1(VALU_DEP_1)
	v_add_co_ci_u32_e64 v65, s0, s9, v57, s0
	v_add_co_u32 v56, s0, 0x1000, v137
	v_add_co_ci_u32_e64 v57, s0, 0, v138, s0
	s_delay_alu instid0(VALU_DEP_4) | instskip(NEXT) | instid1(VALU_DEP_1)
	v_add_co_u32 v58, s0, 0x1000, v64
	v_add_co_ci_u32_e64 v59, s0, 0, v65, s0
	v_add_co_u32 v62, s0, 0x1290, v137
	s_delay_alu instid0(VALU_DEP_1) | instskip(SKIP_4) | instid1(VALU_DEP_4)
	v_add_co_ci_u32_e64 v63, s0, 0, v138, s0
	v_lshlrev_b64 v[60:61], 4, v[60:61]
	v_add_co_u32 v72, s0, 0x1290, v64
	v_and_b32_e32 v64, 0xffff, v66
	v_add_co_ci_u32_e64 v73, s0, 0, v65, s0
	v_add_co_u32 v78, s0, s8, v60
	s_delay_alu instid0(VALU_DEP_3) | instskip(SKIP_2) | instid1(VALU_DEP_4)
	v_mul_u32_u24_e32 v60, 0x6d3b, v64
	v_add_co_ci_u32_e64 v79, s0, s9, v61, s0
	v_lshlrev_b64 v[76:77], 4, v[111:112]
	v_add_co_u32 v74, s0, 0x1000, v78
	s_delay_alu instid0(VALU_DEP_4)
	v_lshrrev_b32_e32 v139, 21, v60
	s_clause 0x3
	global_load_b128 v[64:67], v[56:57], off offset:656
	global_load_b128 v[68:71], v[62:63], off offset:16
	global_load_b128 v[60:63], v[58:59], off offset:656
	global_load_b128 v[56:59], v[72:73], off offset:16
	v_add_co_ci_u32_e64 v75, s0, 0, v79, s0
	v_mul_lo_u16 v72, 0x12c, v139
	v_lshrrev_b16 v73, 2, v209
	v_add_co_u32 v80, s0, s8, v76
	s_delay_alu instid0(VALU_DEP_1) | instskip(NEXT) | instid1(VALU_DEP_4)
	v_add_co_ci_u32_e64 v81, s0, s9, v77, s0
	v_sub_nc_u16 v76, v208, v72
	s_delay_alu instid0(VALU_DEP_4) | instskip(NEXT) | instid1(VALU_DEP_4)
	v_and_b32_e32 v77, 0xffff, v73
	v_add_co_u32 v72, s0, 0x1000, v80
	s_delay_alu instid0(VALU_DEP_1) | instskip(NEXT) | instid1(VALU_DEP_4)
	v_add_co_ci_u32_e64 v73, s0, 0, v81, s0
	v_and_b32_e32 v140, 0xffff, v76
	v_add_co_u32 v76, s0, 0x1290, v78
	v_mul_u32_u24_e32 v82, 0x6d3b, v77
	v_add_co_ci_u32_e64 v77, s0, 0, v79, s0
	v_add_co_u32 v78, s0, 0x1290, v80
	s_delay_alu instid0(VALU_DEP_1) | instskip(NEXT) | instid1(VALU_DEP_4)
	v_add_co_ci_u32_e64 v79, s0, 0, v81, s0
	v_lshrrev_b32_e32 v82, 21, v82
	s_clause 0x3
	global_load_b128 v[104:107], v[74:75], off offset:656
	global_load_b128 v[96:99], v[76:77], off offset:16
	;; [unrolled: 1-line block ×4, first 2 shown]
	v_lshrrev_b16 v81, 2, v210
	v_lshlrev_b32_e32 v83, 5, v140
	v_mul_lo_u16 v80, 0x12c, v82
	v_lshrrev_b16 v75, 2, v214
	v_lshlrev_b32_e32 v144, 3, v144
	v_and_b32_e32 v85, 0xffff, v81
	v_add_co_u32 v82, s0, s8, v83
	v_sub_nc_u16 v84, v209, v80
	v_add_co_ci_u32_e64 v83, null, s9, 0, s0
	s_delay_alu instid0(VALU_DEP_4) | instskip(NEXT) | instid1(VALU_DEP_4)
	v_mul_u32_u24_e32 v74, 0x6d3b, v85
	v_add_co_u32 v80, s0, 0x1000, v82
	s_delay_alu instid0(VALU_DEP_4) | instskip(NEXT) | instid1(VALU_DEP_4)
	v_and_b32_e32 v141, 0xffff, v84
	v_add_co_ci_u32_e64 v81, s0, 0, v83, s0
	s_delay_alu instid0(VALU_DEP_4) | instskip(SKIP_1) | instid1(VALU_DEP_4)
	v_lshrrev_b32_e32 v73, 21, v74
	v_and_b32_e32 v74, 0xffff, v75
	v_lshlrev_b32_e32 v72, 5, v141
	v_add_co_u32 v76, s0, 0x1290, v82
	s_delay_alu instid0(VALU_DEP_1) | instskip(SKIP_3) | instid1(VALU_DEP_1)
	v_add_co_ci_u32_e64 v77, s0, 0, v83, s0
	v_mul_lo_u16 v73, 0x12c, v73
	v_mul_u32_u24_e32 v74, 0x6d3b, v74
	v_add_co_u32 v72, s0, s8, v72
	v_add_co_ci_u32_e64 v75, null, s9, 0, s0
	s_delay_alu instid0(VALU_DEP_4) | instskip(NEXT) | instid1(VALU_DEP_4)
	v_sub_nc_u16 v73, v210, v73
	v_lshrrev_b32_e32 v74, 21, v74
	s_delay_alu instid0(VALU_DEP_4) | instskip(NEXT) | instid1(VALU_DEP_1)
	v_add_co_u32 v82, s0, 0x1000, v72
	v_add_co_ci_u32_e64 v83, s0, 0, v75, s0
	v_add_co_u32 v88, s0, 0x1290, v72
	v_and_b32_e32 v142, 0xffff, v73
	v_mul_lo_u16 v73, 0x12c, v74
	v_add_co_ci_u32_e64 v89, s0, 0, v75, s0
	s_delay_alu instid0(VALU_DEP_3) | instskip(NEXT) | instid1(VALU_DEP_3)
	v_lshlrev_b32_e32 v91, 5, v142
	v_sub_nc_u16 v90, v214, v73
	s_clause 0x3
	global_load_b128 v[72:75], v[80:81], off offset:656
	global_load_b128 v[76:79], v[76:77], off offset:16
	;; [unrolled: 1-line block ×4, first 2 shown]
	v_and_b32_e32 v143, 0xffff, v90
	v_add_co_u32 v90, s0, s8, v91
	s_delay_alu instid0(VALU_DEP_1) | instskip(NEXT) | instid1(VALU_DEP_3)
	v_add_co_ci_u32_e64 v91, null, s9, 0, s0
	v_lshlrev_b32_e32 v92, 5, v143
	s_delay_alu instid0(VALU_DEP_3) | instskip(NEXT) | instid1(VALU_DEP_1)
	v_add_co_u32 v88, s0, 0x1000, v90
	v_add_co_ci_u32_e64 v89, s0, 0, v91, s0
	s_delay_alu instid0(VALU_DEP_3) | instskip(NEXT) | instid1(VALU_DEP_1)
	v_add_co_u32 v100, s0, s8, v92
	v_add_co_ci_u32_e64 v101, null, s9, 0, s0
	v_add_co_u32 v92, s0, 0x1290, v90
	s_delay_alu instid0(VALU_DEP_1) | instskip(NEXT) | instid1(VALU_DEP_4)
	v_add_co_ci_u32_e64 v93, s0, 0, v91, s0
	v_add_co_u32 v94, s0, 0x1000, v100
	s_delay_alu instid0(VALU_DEP_1) | instskip(SKIP_1) | instid1(VALU_DEP_1)
	v_add_co_ci_u32_e64 v95, s0, 0, v101, s0
	v_add_co_u32 v108, s0, 0x1290, v100
	v_add_co_ci_u32_e64 v109, s0, 0, v101, s0
	s_clause 0x3
	global_load_b128 v[88:91], v[88:89], off offset:656
	global_load_b128 v[100:103], v[94:95], off offset:656
	;; [unrolled: 1-line block ×4, first 2 shown]
	ds_load_2addr_b64 v[153:156], v226 offset0:132 offset1:222
	ds_load_2addr_b64 v[164:167], v221 offset0:8 offset1:98
	;; [unrolled: 1-line block ×8, first 2 shown]
	v_cmp_lt_u32_e64 s0, 29, v204
	s_delay_alu instid0(VALU_DEP_1) | instskip(NEXT) | instid1(VALU_DEP_1)
	v_cndmask_b32_e64 v159, 0, 0x1c20, s0
	v_add3_u32 v173, 0, v159, v144
	s_waitcnt vmcnt(19) lgkmcnt(7)
	v_mul_f64 v[157:158], v[153:154], v[46:47]
	s_waitcnt vmcnt(18) lgkmcnt(6)
	v_mul_f64 v[199:200], v[164:165], v[38:39]
	s_waitcnt vmcnt(17)
	v_mul_f64 v[197:198], v[155:156], v[42:43]
	s_waitcnt vmcnt(16)
	v_mul_f64 v[201:202], v[166:167], v[34:35]
	v_mul_f64 v[46:47], v[52:53], v[46:47]
	v_mul_f64 v[216:217], v[54:55], v[42:43]
	v_mul_f64 v[244:245], v[48:49], v[38:39]
	v_mul_f64 v[34:35], v[50:51], v[34:35]
	v_fma_f64 v[52:53], v[52:53], v[44:45], v[157:158]
	v_fma_f64 v[48:49], v[48:49], v[36:37], v[199:200]
	;; [unrolled: 1-line block ×4, first 2 shown]
	s_waitcnt vmcnt(15) lgkmcnt(5)
	v_mul_f64 v[206:207], v[169:170], v[66:67]
	s_waitcnt vmcnt(13)
	v_mul_f64 v[218:219], v[171:172], v[62:63]
	s_waitcnt vmcnt(12) lgkmcnt(4)
	v_mul_f64 v[231:232], v[179:180], v[58:59]
	v_mul_f64 v[211:212], v[177:178], v[70:71]
	;; [unrolled: 1-line block ×4, first 2 shown]
	v_fma_f64 v[46:47], v[153:154], v[44:45], -v[46:47]
	v_mul_f64 v[62:63], v[30:31], v[62:63]
	v_fma_f64 v[153:154], v[155:156], v[40:41], -v[216:217]
	v_mul_f64 v[58:59], v[26:27], v[58:59]
	ds_load_2addr_b64 v[42:45], v222 offset0:84 offset1:174
	ds_load_2addr_b64 v[38:41], v230 offset0:88 offset1:178
	v_fma_f64 v[36:37], v[164:165], v[36:37], -v[244:245]
	v_fma_f64 v[32:33], v[166:167], v[32:33], -v[34:35]
	s_waitcnt vmcnt(11) lgkmcnt(5)
	v_mul_f64 v[236:237], v[181:182], v[106:107]
	s_waitcnt vmcnt(9)
	v_mul_f64 v[238:239], v[183:184], v[147:148]
	s_waitcnt lgkmcnt(4)
	v_mul_f64 v[240:241], v[185:186], v[98:99]
	s_waitcnt vmcnt(8)
	v_mul_f64 v[242:243], v[187:188], v[151:152]
	v_mul_f64 v[106:107], v[20:21], v[106:107]
	;; [unrolled: 1-line block ×3, first 2 shown]
	v_fma_f64 v[28:29], v[28:29], v[64:65], v[206:207]
	v_fma_f64 v[30:31], v[30:31], v[60:61], v[218:219]
	;; [unrolled: 1-line block ×4, first 2 shown]
	v_fma_f64 v[34:35], v[169:170], v[64:65], -v[66:67]
	v_fma_f64 v[64:65], v[177:178], v[68:69], -v[70:71]
	v_add_f64 v[66:67], v[52:53], v[48:49]
	v_add_f64 v[68:69], v[54:55], v[50:51]
	v_fma_f64 v[60:61], v[171:172], v[60:61], -v[62:63]
	v_fma_f64 v[56:57], v[179:180], v[56:57], -v[58:59]
	ds_load_b64 v[70:71], v215
	ds_load_b64 v[166:167], v223
	;; [unrolled: 1-line block ×4, first 2 shown]
	v_fma_f64 v[20:21], v[20:21], v[104:105], v[236:237]
	v_fma_f64 v[201:202], v[22:23], v[145:146], v[238:239]
	v_mul_f64 v[22:23], v[22:23], v[147:148]
	v_fma_f64 v[16:17], v[16:17], v[96:97], v[240:241]
	v_fma_f64 v[147:148], v[18:19], v[149:150], v[242:243]
	v_mul_f64 v[18:19], v[18:19], v[151:152]
	v_fma_f64 v[104:105], v[181:182], v[104:105], -v[106:107]
	v_fma_f64 v[96:97], v[185:186], v[96:97], -v[98:99]
	s_waitcnt vmcnt(7) lgkmcnt(7)
	v_mul_f64 v[155:156], v[189:190], v[74:75]
	s_waitcnt vmcnt(5)
	v_mul_f64 v[157:158], v[191:192], v[86:87]
	s_waitcnt lgkmcnt(6)
	v_mul_f64 v[197:198], v[193:194], v[78:79]
	s_waitcnt vmcnt(4)
	v_mul_f64 v[199:200], v[195:196], v[82:83]
	v_mul_f64 v[74:75], v[12:13], v[74:75]
	;; [unrolled: 1-line block ×5, first 2 shown]
	v_add_f64 v[58:59], v[30:31], v[26:27]
	v_add_f64 v[216:217], v[28:29], v[24:25]
	v_fma_f64 v[66:67], v[66:67], -0.5, v[131:132]
	v_fma_f64 v[68:69], v[68:69], -0.5, v[129:130]
	v_add_f64 v[171:172], v[34:35], -v[64:65]
	s_waitcnt vmcnt(3) lgkmcnt(5)
	v_mul_f64 v[151:152], v[42:43], v[90:91]
	s_waitcnt vmcnt(2)
	v_mul_f64 v[206:207], v[44:45], v[102:103]
	s_waitcnt vmcnt(1) lgkmcnt(4)
	v_mul_f64 v[164:165], v[38:39], v[94:95]
	v_fma_f64 v[22:23], v[183:184], v[145:146], -v[22:23]
	v_add_f64 v[98:99], v[20:21], v[16:17]
	v_add_f64 v[106:107], v[201:202], v[147:148]
	v_fma_f64 v[18:19], v[187:188], v[149:150], -v[18:19]
	s_waitcnt vmcnt(0)
	v_mul_f64 v[211:212], v[40:41], v[110:111]
	v_mul_f64 v[90:91], v[4:5], v[90:91]
	v_mul_f64 v[94:95], v[0:1], v[94:95]
	v_fma_f64 v[12:13], v[12:13], v[72:73], v[155:156]
	v_fma_f64 v[14:15], v[14:15], v[84:85], v[157:158]
	;; [unrolled: 1-line block ×4, first 2 shown]
	v_mul_f64 v[102:103], v[6:7], v[102:103]
	v_mul_f64 v[110:111], v[2:3], v[110:111]
	v_add_f64 v[157:158], v[131:132], v[52:53]
	v_add_f64 v[131:132], v[129:130], v[54:55]
	;; [unrolled: 1-line block ×3, first 2 shown]
	v_fma_f64 v[72:73], v[189:190], v[72:73], -v[74:75]
	v_fma_f64 v[74:75], v[193:194], v[76:77], -v[78:79]
	;; [unrolled: 1-line block ×4, first 2 shown]
	v_add_f64 v[80:81], v[125:126], v[30:31]
	v_add_f64 v[84:85], v[60:61], -v[56:57]
	v_fma_f64 v[58:59], v[58:59], -0.5, v[125:126]
	v_add_f64 v[125:126], v[117:118], v[20:21]
	v_add_f64 v[183:184], v[123:124], v[201:202]
	v_fma_f64 v[127:128], v[216:217], -0.5, v[127:128]
	v_add_f64 v[185:186], v[104:105], -v[96:97]
	ds_load_b64 v[86:87], v174
	ds_load_b64 v[155:156], v175
	;; [unrolled: 1-line block ×6, first 2 shown]
	s_waitcnt lgkmcnt(0)
	s_barrier
	buffer_gl0_inv
	v_fma_f64 v[4:5], v[4:5], v[88:89], v[151:152]
	v_add_f64 v[151:152], v[46:47], -v[36:37]
	v_fma_f64 v[0:1], v[0:1], v[92:93], v[164:165]
	v_add_f64 v[164:165], v[153:154], -v[32:33]
	v_fma_f64 v[98:99], v[98:99], -0.5, v[117:118]
	v_fma_f64 v[106:107], v[106:107], -0.5, v[123:124]
	v_add_f64 v[117:118], v[22:23], -v[18:19]
	v_fma_f64 v[6:7], v[6:7], v[100:101], v[206:207]
	v_fma_f64 v[2:3], v[2:3], v[108:109], v[211:212]
	v_fma_f64 v[42:43], v[42:43], v[88:89], -v[90:91]
	v_fma_f64 v[90:91], v[38:39], v[92:93], -v[94:95]
	v_add_f64 v[88:89], v[46:47], v[36:37]
	v_add_f64 v[76:77], v[12:13], v[8:9]
	;; [unrolled: 1-line block ×3, first 2 shown]
	v_add_f64 v[38:39], v[52:53], -v[48:49]
	v_add_f64 v[52:53], v[54:55], -v[50:51]
	v_add_f64 v[54:55], v[153:154], v[32:33]
	v_fma_f64 v[44:45], v[44:45], v[100:101], -v[102:103]
	v_fma_f64 v[40:41], v[40:41], v[108:109], -v[110:111]
	v_add_f64 v[92:93], v[34:35], v[64:65]
	v_add_f64 v[48:49], v[157:158], v[48:49]
	v_add_f64 v[50:51], v[131:132], v[50:51]
	v_add_f64 v[110:111], v[129:130], v[24:25]
	v_add_f64 v[24:25], v[28:29], -v[24:25]
	v_add_f64 v[28:29], v[70:71], v[46:47]
	v_add_f64 v[46:47], v[60:61], v[56:57]
	v_add_f64 v[129:130], v[72:73], -v[74:75]
	v_add_f64 v[131:132], v[121:122], v[12:13]
	v_add_f64 v[80:81], v[80:81], v[26:27]
	v_fma_f64 v[123:124], v[171:172], s[2:3], v[127:128]
	v_fma_f64 v[127:128], v[171:172], s[4:5], v[127:128]
	v_add_f64 v[34:35], v[169:170], v[34:35]
	v_add_f64 v[26:27], v[30:31], -v[26:27]
	v_add_f64 v[30:31], v[144:145], v[60:61]
	v_fma_f64 v[102:103], v[151:152], s[2:3], v[66:67]
	v_add_f64 v[94:95], v[4:5], v[0:1]
	v_fma_f64 v[66:67], v[151:152], s[4:5], v[66:67]
	v_fma_f64 v[108:109], v[164:165], s[2:3], v[68:69]
	;; [unrolled: 1-line block ×3, first 2 shown]
	v_add_f64 v[151:152], v[119:120], v[14:15]
	v_fma_f64 v[164:165], v[117:118], s[2:3], v[106:107]
	v_fma_f64 v[106:107], v[117:118], s[4:5], v[106:107]
	v_add_f64 v[117:118], v[166:167], v[153:154]
	v_add_f64 v[100:101], v[6:7], v[2:3]
	;; [unrolled: 1-line block ×3, first 2 shown]
	v_fma_f64 v[76:77], v[76:77], -0.5, v[121:122]
	v_add_f64 v[121:122], v[62:63], -v[78:79]
	v_fma_f64 v[82:83], v[82:83], -0.5, v[119:120]
	v_fma_f64 v[119:120], v[84:85], s[2:3], v[58:59]
	v_fma_f64 v[58:59], v[84:85], s[4:5], v[58:59]
	v_add_f64 v[84:85], v[125:126], v[16:17]
	v_add_f64 v[125:126], v[183:184], v[147:148]
	v_fma_f64 v[157:158], v[185:186], s[2:3], v[98:99]
	v_fma_f64 v[70:71], v[88:89], -0.5, v[70:71]
	v_add_f64 v[88:89], v[42:43], -v[90:91]
	v_fma_f64 v[54:55], v[54:55], -0.5, v[166:167]
	v_fma_f64 v[98:99], v[185:186], s[4:5], v[98:99]
	v_add_f64 v[171:172], v[115:116], v[6:7]
	v_fma_f64 v[92:93], v[92:93], -0.5, v[169:170]
	ds_store_b64 v215, v[48:49]
	ds_store_b64 v215, v[102:103] offset:2400
	ds_store_b64 v215, v[66:67] offset:4800
	ds_store_b64 v223, v[50:51]
	ds_store_b64 v223, v[108:109] offset:2400
	ds_store_b64 v223, v[68:69] offset:4800
	;; [unrolled: 3-line block ×3, first 2 shown]
	v_fma_f64 v[94:95], v[94:95], -0.5, v[113:114]
	v_add_nc_u32_e32 v113, 0x1c00, v215
	v_fma_f64 v[46:47], v[46:47], -0.5, v[144:145]
	v_add_f64 v[48:49], v[131:132], v[8:9]
	ds_store_b64 v173, v[80:81]
	ds_store_b64 v173, v[119:120] offset:2400
	ds_store_b64 v173, v[58:59] offset:4800
	v_fma_f64 v[50:51], v[129:130], s[2:3], v[76:77]
	v_fma_f64 v[60:61], v[129:130], s[4:5], v[76:77]
	;; [unrolled: 1-line block ×3, first 2 shown]
	v_add_f64 v[58:59], v[104:105], v[96:97]
	v_fma_f64 v[76:77], v[121:122], s[4:5], v[82:83]
	ds_store_2addr_b64 v113, v[84:85], v[125:126] offset0:64 offset1:154
	v_add_f64 v[80:81], v[22:23], v[18:19]
	v_add_f64 v[82:83], v[72:73], v[74:75]
	;; [unrolled: 1-line block ×7, first 2 shown]
	v_add_f64 v[183:184], v[44:45], -v[40:41]
	v_fma_f64 v[100:101], v[100:101], -0.5, v[115:116]
	v_mul_u32_u24_e32 v110, 0x1c20, v139
	v_lshlrev_b32_e32 v111, 3, v140
	v_add_f64 v[66:67], v[151:152], v[10:11]
	ds_store_2addr_b64 v220, v[157:158], v[164:165] offset0:108 offset1:198
	ds_store_2addr_b64 v222, v[98:99], v[106:107] offset0:24 offset1:114
	v_fma_f64 v[98:99], v[38:39], s[4:5], v[70:71]
	v_fma_f64 v[70:71], v[38:39], s[2:3], v[70:71]
	v_add3_u32 v114, 0, v110, v111
	v_fma_f64 v[106:107], v[52:53], s[4:5], v[54:55]
	v_fma_f64 v[52:53], v[52:53], s[2:3], v[54:55]
	v_add_f64 v[54:55], v[34:35], v[64:65]
	v_fma_f64 v[34:35], v[88:89], s[2:3], v[94:95]
	v_fma_f64 v[38:39], v[88:89], s[4:5], v[94:95]
	v_add_f64 v[88:89], v[153:154], v[0:1]
	v_fma_f64 v[64:65], v[24:25], s[4:5], v[92:93]
	v_add_f64 v[94:95], v[171:172], v[2:3]
	;; [unrolled: 2-line block ×3, first 2 shown]
	v_fma_f64 v[110:111], v[26:27], s[4:5], v[46:47]
	v_fma_f64 v[46:47], v[26:27], s[2:3], v[46:47]
	ds_store_b64 v114, v[48:49]
	ds_store_b64 v114, v[50:51] offset:2400
	ds_store_b64 v114, v[60:61] offset:4800
	v_add_f64 v[24:25], v[177:178], v[104:105]
	v_add_f64 v[16:17], v[20:21], -v[16:17]
	v_add_f64 v[20:21], v[86:87], v[22:23]
	v_fma_f64 v[26:27], v[58:59], -0.5, v[177:178]
	v_add_f64 v[30:31], v[201:202], -v[147:148]
	v_add_f64 v[48:49], v[179:180], v[72:73]
	v_fma_f64 v[22:23], v[80:81], -0.5, v[86:87]
	v_fma_f64 v[50:51], v[82:83], -0.5, v[179:180]
	v_add_f64 v[8:9], v[12:13], -v[8:9]
	v_add_f64 v[12:13], v[155:156], v[62:63]
	v_fma_f64 v[28:29], v[28:29], -0.5, v[155:156]
	v_add_f64 v[10:11], v[14:15], -v[10:11]
	v_add_f64 v[14:15], v[149:150], v[42:43]
	;; [unrolled: 3-line block ×3, first 2 shown]
	v_fma_f64 v[44:45], v[36:37], -0.5, v[181:182]
	v_add_f64 v[2:3], v[6:7], -v[2:3]
	v_fma_f64 v[108:109], v[183:184], s[2:3], v[100:101]
	v_fma_f64 v[100:101], v[183:184], s[4:5], v[100:101]
	v_lshl_add_u32 v115, v141, 3, 0
	v_lshl_add_u32 v116, v142, 3, 0
	;; [unrolled: 1-line block ×3, first 2 shown]
	ds_store_b64 v115, v[66:67] offset:14400
	ds_store_b64 v115, v[68:69] offset:16800
	;; [unrolled: 1-line block ×9, first 2 shown]
	s_waitcnt lgkmcnt(0)
	s_barrier
	buffer_gl0_inv
	ds_load_b64 v[148:149], v234
	ds_load_b64 v[154:155], v235
	;; [unrolled: 1-line block ×10, first 2 shown]
	ds_load_2addr_b64 v[36:39], v226 offset0:132 offset1:222
	ds_load_2addr_b64 v[32:35], v221 offset0:8 offset1:98
	v_add_f64 v[58:59], v[24:25], v[96:97]
	v_fma_f64 v[60:61], v[16:17], s[4:5], v[26:27]
	v_fma_f64 v[62:63], v[16:17], s[2:3], v[26:27]
	v_add_f64 v[66:67], v[20:21], v[18:19]
	v_fma_f64 v[68:69], v[30:31], s[4:5], v[22:23]
	v_fma_f64 v[72:73], v[30:31], s[2:3], v[22:23]
	v_add_f64 v[48:49], v[48:49], v[74:75]
	v_fma_f64 v[74:75], v[8:9], s[4:5], v[50:51]
	v_fma_f64 v[50:51], v[8:9], s[2:3], v[50:51]
	v_add_f64 v[76:77], v[12:13], v[78:79]
	v_fma_f64 v[78:79], v[10:11], s[4:5], v[28:29]
	v_fma_f64 v[80:81], v[10:11], s[2:3], v[28:29]
	v_add_f64 v[82:83], v[14:15], v[90:91]
	v_fma_f64 v[86:87], v[0:1], s[4:5], v[42:43]
	v_fma_f64 v[42:43], v[0:1], s[2:3], v[42:43]
	v_add_f64 v[40:41], v[4:5], v[40:41]
	v_fma_f64 v[88:89], v[2:3], s[4:5], v[44:45]
	v_fma_f64 v[44:45], v[2:3], s[2:3], v[44:45]
	ds_load_2addr_b64 v[0:3], v213 offset0:56 offset1:146
	ds_load_2addr_b64 v[4:7], v229 offset0:60 offset1:150
	;; [unrolled: 1-line block ×8, first 2 shown]
	s_waitcnt lgkmcnt(0)
	s_barrier
	buffer_gl0_inv
	ds_store_b64 v215, v[84:85]
	ds_store_b64 v215, v[98:99] offset:2400
	ds_store_b64 v215, v[70:71] offset:4800
	ds_store_b64 v223, v[102:103]
	ds_store_b64 v223, v[106:107] offset:2400
	ds_store_b64 v223, v[52:53] offset:4800
	;; [unrolled: 3-line block ×4, first 2 shown]
	ds_store_2addr_b64 v113, v[58:59], v[66:67] offset0:64 offset1:154
	ds_store_2addr_b64 v220, v[60:61], v[68:69] offset0:108 offset1:198
	;; [unrolled: 1-line block ×3, first 2 shown]
	ds_store_b64 v114, v[48:49]
	ds_store_b64 v114, v[74:75] offset:2400
	ds_store_b64 v114, v[50:51] offset:4800
	ds_store_b64 v115, v[76:77] offset:14400
	ds_store_b64 v115, v[78:79] offset:16800
	ds_store_b64 v115, v[80:81] offset:19200
	ds_store_b64 v116, v[82:83] offset:14400
	ds_store_b64 v116, v[86:87] offset:16800
	ds_store_b64 v116, v[42:43] offset:19200
	ds_store_b64 v117, v[40:41] offset:14400
	ds_store_b64 v117, v[88:89] offset:16800
	ds_store_b64 v117, v[44:45] offset:19200
	s_waitcnt lgkmcnt(0)
	s_barrier
	buffer_gl0_inv
	s_and_saveexec_b32 s0, vcc_lo
	s_cbranch_execz .LBB0_15
; %bb.14:
	v_lshlrev_b32_e32 v111, 1, v214
	v_mul_lo_u32 v198, s11, v162
	v_mul_lo_u32 v199, s10, v163
	v_mad_u64_u32 v[193:194], null, s10, v162, 0
	s_delay_alu instid0(VALU_DEP_4) | instskip(SKIP_4) | instid1(VALU_DEP_4)
	v_lshlrev_b64 v[40:41], 4, v[111:112]
	v_lshlrev_b32_e32 v111, 1, v210
	v_mul_hi_u32 v200, 0x91a2b3c5, v204
	v_add_nc_u32_e32 v207, 0xb4, v204
	v_lshlrev_b64 v[160:161], 4, v[160:161]
	v_lshlrev_b64 v[44:45], 4, v[111:112]
	v_add_co_u32 v42, vcc_lo, s8, v40
	v_add_co_ci_u32_e32 v43, vcc_lo, s9, v41, vcc_lo
	v_lshlrev_b32_e32 v111, 1, v209
	s_delay_alu instid0(VALU_DEP_3) | instskip(NEXT) | instid1(VALU_DEP_3)
	v_add_co_u32 v40, vcc_lo, 0x3810, v42
	v_add_co_ci_u32_e32 v41, vcc_lo, 0, v43, vcc_lo
	v_add_co_u32 v42, vcc_lo, 0x3000, v42
	v_add_co_ci_u32_e32 v43, vcc_lo, 0, v43, vcc_lo
	;; [unrolled: 2-line block ×5, first 2 shown]
	s_delay_alu instid0(VALU_DEP_4) | instskip(NEXT) | instid1(VALU_DEP_4)
	v_add_co_u32 v58, vcc_lo, 0x3810, v48
	v_add_co_ci_u32_e32 v59, vcc_lo, 0, v49, vcc_lo
	v_add_co_u32 v44, vcc_lo, 0x3810, v135
	v_add_co_ci_u32_e32 v45, vcc_lo, 0, v136, vcc_lo
	;; [unrolled: 2-line block ×3, first 2 shown]
	s_clause 0x5
	global_load_b128 v[52:55], v[42:43], off offset:2064
	global_load_b128 v[48:51], v[40:41], off offset:16
	;; [unrolled: 1-line block ×6, first 2 shown]
	v_lshlrev_b64 v[58:59], 4, v[111:112]
	v_add_co_u32 v60, vcc_lo, 0x3810, v133
	v_add_co_ci_u32_e32 v61, vcc_lo, 0, v134, vcc_lo
	s_clause 0x1
	global_load_b128 v[124:127], v[56:57], off offset:2064
	global_load_b128 v[116:119], v[60:61], off offset:16
	v_add_co_u32 v58, vcc_lo, s8, v58
	v_add_co_ci_u32_e32 v59, vcc_lo, s9, v59, vcc_lo
	v_lshlrev_b32_e32 v111, 1, v208
	s_delay_alu instid0(VALU_DEP_3) | instskip(NEXT) | instid1(VALU_DEP_3)
	v_add_co_u32 v60, vcc_lo, 0x3810, v58
	v_add_co_ci_u32_e32 v61, vcc_lo, 0, v59, vcc_lo
	v_add_co_u32 v56, vcc_lo, 0x3000, v58
	v_add_co_ci_u32_e32 v57, vcc_lo, 0, v59, vcc_lo
	v_add_co_u32 v64, vcc_lo, 0x3000, v137
	v_lshlrev_b64 v[66:67], 4, v[111:112]
	v_add_co_ci_u32_e32 v65, vcc_lo, 0, v138, vcc_lo
	v_add_co_u32 v68, vcc_lo, 0x3810, v137
	v_lshlrev_b32_e32 v111, 1, v249
	v_add_co_ci_u32_e32 v69, vcc_lo, 0, v138, vcc_lo
	v_add_co_u32 v70, vcc_lo, s8, v66
	s_clause 0x1
	global_load_b128 v[56:59], v[56:57], off offset:2064
	global_load_b128 v[60:63], v[60:61], off offset:16
	v_add_co_ci_u32_e32 v71, vcc_lo, s9, v67, vcc_lo
	s_clause 0x1
	global_load_b128 v[132:135], v[64:65], off offset:2064
	global_load_b128 v[128:131], v[68:69], off offset:16
	v_lshlrev_b64 v[64:65], 4, v[111:112]
	v_add_co_u32 v66, vcc_lo, 0x3810, v70
	v_add_co_ci_u32_e32 v67, vcc_lo, 0, v71, vcc_lo
	v_lshlrev_b32_e32 v111, 1, v203
	s_delay_alu instid0(VALU_DEP_4) | instskip(SKIP_3) | instid1(VALU_DEP_4)
	v_add_co_u32 v72, vcc_lo, s8, v64
	v_add_co_ci_u32_e32 v73, vcc_lo, s9, v65, vcc_lo
	v_add_co_u32 v64, vcc_lo, 0x3000, v70
	v_add_co_ci_u32_e32 v65, vcc_lo, 0, v71, vcc_lo
	v_add_co_u32 v68, vcc_lo, 0x3000, v72
	s_delay_alu instid0(VALU_DEP_4)
	v_add_co_ci_u32_e32 v69, vcc_lo, 0, v73, vcc_lo
	v_add_co_u32 v70, vcc_lo, 0x3810, v72
	v_add_co_ci_u32_e32 v71, vcc_lo, 0, v73, vcc_lo
	v_lshlrev_b64 v[72:73], 4, v[111:112]
	s_clause 0x3
	global_load_b128 v[88:91], v[64:65], off offset:2064
	global_load_b128 v[92:95], v[66:67], off offset:16
	;; [unrolled: 1-line block ×4, first 2 shown]
	v_lshlrev_b32_e32 v111, 1, v205
	v_add_nc_u32_e32 v203, 0x5a, v204
	v_mul_hi_u32 v210, 0x91a2b3c5, v207
	v_lshrrev_b32_e32 v212, 9, v200
	v_add_co_u32 v66, vcc_lo, s8, v72
	v_add_co_ci_u32_e32 v67, vcc_lo, s9, v73, vcc_lo
	v_lshlrev_b64 v[64:65], 4, v[111:112]
	s_delay_alu instid0(VALU_DEP_3) | instskip(NEXT) | instid1(VALU_DEP_3)
	v_add_co_u32 v68, vcc_lo, 0x3810, v66
	v_add_co_ci_u32_e32 v69, vcc_lo, 0, v67, vcc_lo
	v_add_co_u32 v66, vcc_lo, 0x3000, v66
	v_add_co_ci_u32_e32 v67, vcc_lo, 0, v67, vcc_lo
	;; [unrolled: 2-line block ×3, first 2 shown]
	s_clause 0x1
	global_load_b128 v[64:67], v[66:67], off offset:2064
	global_load_b128 v[68:71], v[68:69], off offset:16
	v_add_co_u32 v72, vcc_lo, 0x3000, v74
	v_add_co_ci_u32_e32 v73, vcc_lo, 0, v75, vcc_lo
	v_add_co_u32 v76, vcc_lo, 0x3810, v74
	v_add_co_ci_u32_e32 v77, vcc_lo, 0, v75, vcc_lo
	s_clause 0x1
	global_load_b128 v[72:75], v[72:73], off offset:2064
	global_load_b128 v[76:79], v[76:77], off offset:16
	scratch_load_b32 v100, off, off offset:20 ; 4-byte Folded Reload
	v_mul_hi_u32 v209, 0x91a2b3c5, v203
	v_add3_u32 v194, v194, v199, v198
	s_delay_alu instid0(VALU_DEP_1) | instskip(NEXT) | instid1(VALU_DEP_1)
	v_lshlrev_b64 v[193:194], 4, v[193:194]
	v_add_co_u32 v214, vcc_lo, s6, v193
	s_waitcnt vmcnt(20)
	v_mul_f64 v[237:238], v[30:31], v[54:55]
	s_waitcnt vmcnt(9)
	v_mul_f64 v[235:236], v[4:5], v[130:131]
	s_waitcnt vmcnt(0)
	v_sub_nc_u32_e32 v195, 0, v100
	scratch_load_b32 v100, off, off offset:24 ; 4-byte Folded Reload
	s_waitcnt vmcnt(0)
	v_sub_nc_u32_e32 v196, 0, v100
	scratch_load_b32 v100, off, off offset:28 ; 4-byte Folded Reload
	s_waitcnt vmcnt(0)
	v_sub_nc_u32_e32 v197, 0, v100
	ds_load_2addr_b64 v[177:180], v222 offset0:84 offset1:174
	ds_load_2addr_b64 v[181:184], v230 offset0:88 offset1:178
	;; [unrolled: 1-line block ×10, first 2 shown]
	ds_load_b64 v[162:163], v168
	ds_load_b64 v[172:173], v227
	;; [unrolled: 1-line block ×4, first 2 shown]
	scratch_load_b32 v201, off, off offset:12 ; 4-byte Folded Reload
	v_lshrrev_b32_e32 v213, 9, v210
	v_add_co_ci_u32_e32 v215, vcc_lo, s7, v194, vcc_lo
	v_add_co_u32 v160, vcc_lo, v214, v160
	s_waitcnt lgkmcnt(13)
	v_mul_f64 v[54:55], v[179:180], v[54:55]
	s_delay_alu instid0(VALU_DEP_3)
	v_add_co_ci_u32_e32 v161, vcc_lo, v215, v161, vcc_lo
	v_fma_f64 v[179:180], v[52:53], v[179:180], -v[237:238]
	s_waitcnt lgkmcnt(6)
	v_mul_f64 v[130:131], v[104:105], v[130:131]
	v_fma_f64 v[104:105], v[128:129], v[104:105], -v[235:236]
	v_fma_f64 v[30:31], v[30:31], v[52:53], v[54:55]
	v_mul_f64 v[52:53], v[108:109], v[66:67]
	v_mul_f64 v[54:55], v[112:113], v[70:71]
	v_fma_f64 v[4:5], v[4:5], v[128:129], v[130:131]
	s_delay_alu instid0(VALU_DEP_3)
	v_fma_f64 v[52:53], v[8:9], v[64:65], v[52:53]
	s_waitcnt vmcnt(0)
	v_add_nc_u32_e32 v196, v201, v196
	scratch_load_b32 v201, off, off offset:16 ; 4-byte Folded Reload
	s_waitcnt vmcnt(0)
	v_add_nc_u32_e32 v197, v201, v197
	scratch_load_b32 v201, off, off offset:8 ; 4-byte Folded Reload
	s_waitcnt vmcnt(0)
	v_add_nc_u32_e32 v205, v201, v195
	ds_load_b64 v[195:196], v196
	ds_load_b64 v[197:198], v197
	;; [unrolled: 1-line block ×6, first 2 shown]
	v_mul_u32_u24_e32 v174, 0x384, v212
	v_lshrrev_b32_e32 v212, 9, v209
	v_mul_u32_u24_e32 v209, 0x384, v213
	s_delay_alu instid0(VALU_DEP_3) | instskip(NEXT) | instid1(VALU_DEP_3)
	v_sub_nc_u32_e32 v217, v204, v174
	v_mul_u32_u24_e32 v174, 0x384, v212
	s_delay_alu instid0(VALU_DEP_2) | instskip(NEXT) | instid1(VALU_DEP_2)
	v_mad_u64_u32 v[193:194], null, s12, v217, 0
	v_sub_nc_u32_e32 v174, v203, v174
	v_sub_nc_u32_e32 v203, v207, v209
	v_add_nc_u32_e32 v227, 0x708, v217
	s_delay_alu instid0(VALU_DEP_3) | instskip(NEXT) | instid1(VALU_DEP_3)
	v_mad_u32_u24 v228, 0xa8c, v212, v174
	v_mad_u32_u24 v229, 0xa8c, v213, v203
	v_mov_b32_e32 v174, v194
	s_delay_alu instid0(VALU_DEP_3) | instskip(NEXT) | instid1(VALU_DEP_3)
	v_add_nc_u32_e32 v230, 0x384, v228
	v_mad_u64_u32 v[213:214], null, s12, v229, 0
	v_add_nc_u32_e32 v208, 0x10e, v204
	v_add_nc_u32_e32 v232, 0x384, v229
	;; [unrolled: 1-line block ×4, first 2 shown]
	v_mov_b32_e32 v203, v214
	v_mul_hi_u32 v211, 0x91a2b3c5, v208
	v_mad_u64_u32 v[220:221], null, s12, v232, 0
	v_add_nc_u32_e32 v226, 0x384, v217
	v_mad_u64_u32 v[218:219], null, s12, v231, 0
	v_mad_u64_u32 v[222:223], null, s12, v233, 0
	v_lshrrev_b32_e32 v211, 9, v211
	s_delay_alu instid0(VALU_DEP_1) | instskip(NEXT) | instid1(VALU_DEP_1)
	v_mul_u32_u24_e32 v210, 0x384, v211
	v_sub_nc_u32_e32 v216, v208, v210
	v_mad_u64_u32 v[207:208], null, s12, v226, 0
	v_mad_u64_u32 v[209:210], null, s12, v227, 0
	s_delay_alu instid0(VALU_DEP_3)
	v_mad_u32_u24 v239, 0xa8c, v211, v216
	v_mad_u64_u32 v[211:212], null, s12, v228, 0
	s_waitcnt lgkmcnt(2)
	v_mad_u64_u32 v[215:216], null, s13, v217, v[174:175]
	v_mov_b32_e32 v174, v208
	v_mad_u64_u32 v[216:217], null, s12, v230, 0
	v_mov_b32_e32 v194, v210
	s_delay_alu instid0(VALU_DEP_3) | instskip(SKIP_1) | instid1(VALU_DEP_3)
	v_mad_u64_u32 v[224:225], null, s13, v226, v[174:175]
	v_mov_b32_e32 v174, v212
	v_mad_u64_u32 v[225:226], null, s13, v227, v[194:195]
	v_mov_b32_e32 v194, v215
	;; [unrolled: 2-line block ×4, first 2 shown]
	v_mov_b32_e32 v212, v219
	v_dual_mov_b32 v215, v223 :: v_dual_mov_b32 v208, v224
	v_mov_b32_e32 v210, v225
	s_delay_alu instid0(VALU_DEP_4) | instskip(NEXT) | instid1(VALU_DEP_4)
	v_mad_u64_u32 v[223:224], null, s13, v230, v[174:175]
	v_mad_u64_u32 v[224:225], null, s13, v231, v[212:213]
	v_mov_b32_e32 v212, v214
	v_mov_b32_e32 v214, v226
	v_mul_f64 v[225:226], v[38:39], v[122:123]
	v_mul_f64 v[122:123], v[187:188], v[122:123]
	v_mov_b32_e32 v217, v223
	v_lshlrev_b64 v[193:194], 4, v[193:194]
	v_mov_b32_e32 v219, v224
	v_mad_u64_u32 v[227:228], null, s13, v232, v[203:204]
	v_mad_u64_u32 v[228:229], null, s13, v233, v[215:216]
	v_mul_f64 v[229:230], v[36:37], v[126:127]
	v_mul_f64 v[126:127], v[185:186], v[126:127]
	;; [unrolled: 1-line block ×8, first 2 shown]
	v_lshlrev_b64 v[207:208], 4, v[207:208]
	v_lshlrev_b64 v[209:210], 4, v[209:210]
	v_add_co_u32 v193, vcc_lo, v160, v193
	v_add_co_ci_u32_e32 v194, vcc_lo, v161, v194, vcc_lo
	v_lshlrev_b64 v[211:212], 4, v[211:212]
	v_add_co_u32 v207, vcc_lo, v160, v207
	v_add_co_ci_u32_e32 v208, vcc_lo, v161, v208, vcc_lo
	;; [unrolled: 3-line block ×4, first 2 shown]
	v_fma_f64 v[187:188], v[120:121], v[187:188], -v[225:226]
	v_fma_f64 v[38:39], v[38:39], v[120:121], v[122:123]
	v_mul_f64 v[120:121], v[26:27], v[50:51]
	v_mul_f64 v[50:51], v[183:184], v[50:51]
	;; [unrolled: 1-line block ×4, first 2 shown]
	v_lshlrev_b64 v[217:218], 4, v[218:219]
	v_add_co_u32 v213, vcc_lo, v160, v213
	v_fma_f64 v[122:123], v[124:125], v[185:186], -v[229:230]
	v_mul_f64 v[185:186], v[28:29], v[46:47]
	v_mul_f64 v[46:47], v[177:178], v[46:47]
	v_fma_f64 v[36:37], v[36:37], v[124:125], v[126:127]
	v_mul_f64 v[124:125], v[24:25], v[42:43]
	v_mul_f64 v[42:43], v[181:182], v[42:43]
	;; [unrolled: 1-line block ×3, first 2 shown]
	v_fma_f64 v[191:192], v[96:97], v[191:192], -v[223:224]
	v_fma_f64 v[34:35], v[34:35], v[96:97], v[98:99]
	v_mul_f64 v[58:59], v[138:139], v[58:59]
	v_fma_f64 v[96:97], v[116:117], v[189:190], -v[231:232]
	v_mul_f64 v[98:99], v[16:17], v[90:91]
	v_mul_f64 v[189:190], v[20:21], v[94:95]
	v_fma_f64 v[32:33], v[32:33], v[116:117], v[118:119]
	v_mul_f64 v[90:91], v[136:137], v[90:91]
	v_mul_f64 v[94:95], v[140:141], v[94:95]
	;; [unrolled: 1-line block ×4, first 2 shown]
	v_fma_f64 v[100:101], v[132:133], v[100:101], -v[233:234]
	v_fma_f64 v[0:1], v[0:1], v[132:133], v[134:135]
	v_mul_f64 v[82:83], v[110:111], v[82:83]
	v_mul_f64 v[86:87], v[114:115], v[86:87]
	;; [unrolled: 1-line block ×4, first 2 shown]
	v_fma_f64 v[12:13], v[12:13], v[68:69], v[54:55]
	v_add_co_ci_u32_e32 v214, vcc_lo, v161, v214, vcc_lo
	v_add_co_u32 v128, vcc_lo, v160, v215
	v_add_co_ci_u32_e32 v129, vcc_lo, v161, v216, vcc_lo
	v_fma_f64 v[66:67], v[48:49], v[183:184], -v[120:121]
	v_fma_f64 v[48:49], v[26:27], v[48:49], v[50:51]
	v_mul_f64 v[26:27], v[2:3], v[74:75]
	v_mul_f64 v[50:51], v[6:7], v[78:79]
	;; [unrolled: 1-line block ×4, first 2 shown]
	v_fma_f64 v[22:23], v[22:23], v[60:61], v[62:63]
	v_add_co_u32 v130, vcc_lo, v160, v217
	v_fma_f64 v[70:71], v[44:45], v[177:178], -v[185:186]
	v_fma_f64 v[28:29], v[28:29], v[44:45], v[46:47]
	v_fma_f64 v[44:45], v[40:41], v[181:182], -v[124:125]
	v_fma_f64 v[40:41], v[24:25], v[40:41], v[42:43]
	v_fma_f64 v[24:25], v[56:57], v[138:139], -v[126:127]
	v_fma_f64 v[42:43], v[60:61], v[142:143], -v[225:226]
	v_mov_b32_e32 v221, v227
	v_fma_f64 v[18:19], v[18:19], v[56:57], v[58:59]
	v_add_co_ci_u32_e32 v131, vcc_lo, v161, v218, vcc_lo
	v_fma_f64 v[46:47], v[88:89], v[136:137], -v[98:99]
	v_fma_f64 v[56:57], v[92:93], v[140:141], -v[189:190]
	v_fma_f64 v[16:17], v[16:17], v[88:89], v[90:91]
	v_fma_f64 v[20:21], v[20:21], v[92:93], v[94:95]
	v_fma_f64 v[58:59], v[80:81], v[110:111], -v[116:117]
	v_fma_f64 v[60:61], v[84:85], v[114:115], -v[118:119]
	v_add_f64 v[62:63], v[100:101], v[104:105]
	v_add_f64 v[88:89], v[187:188], v[191:192]
	v_fma_f64 v[10:11], v[10:11], v[80:81], v[82:83]
	v_fma_f64 v[14:15], v[14:15], v[84:85], v[86:87]
	v_add_f64 v[82:83], v[172:173], v[100:101]
	v_add_f64 v[84:85], v[0:1], v[4:5]
	v_add_f64 v[86:87], v[100:101], -v[104:105]
	v_add_f64 v[92:93], v[170:171], v[187:188]
	v_add_f64 v[94:95], v[38:39], v[34:35]
	v_add_f64 v[100:101], v[122:123], v[96:97]
	v_add_f64 v[114:115], v[168:169], v[122:123]
	v_add_f64 v[116:117], v[36:37], v[32:33]
	v_fma_f64 v[108:109], v[64:65], v[108:109], -v[132:133]
	v_fma_f64 v[112:113], v[68:69], v[112:113], -v[134:135]
	v_add_f64 v[98:99], v[187:188], -v[191:192]
	v_fma_f64 v[54:55], v[72:73], v[102:103], -v[26:27]
	v_fma_f64 v[102:103], v[76:77], v[106:107], -v[50:51]
	v_fma_f64 v[2:3], v[2:3], v[72:73], v[74:75]
	v_fma_f64 v[72:73], v[6:7], v[76:77], v[78:79]
	v_add_f64 v[110:111], v[36:37], -v[32:33]
	v_add_f64 v[118:119], v[122:123], -v[96:97]
	v_add_f64 v[36:37], v[158:159], v[36:37]
	v_add_f64 v[76:77], v[30:31], -v[48:49]
	v_add_f64 v[64:65], v[30:31], v[48:49]
	v_add_f64 v[68:69], v[154:155], v[30:31]
	v_add_f64 v[80:81], v[0:1], -v[4:5]
	v_add_f64 v[0:1], v[166:167], v[0:1]
	;; [unrolled: 3-line block ×3, first 2 shown]
	v_add_f64 v[74:75], v[70:71], v[44:45]
	v_add_f64 v[120:121], v[199:200], v[70:71]
	v_add_f64 v[177:178], v[195:196], v[46:47]
	v_add_f64 v[140:141], v[46:47], v[56:57]
	v_add_f64 v[181:182], v[46:47], -v[56:57]
	v_add_f64 v[124:125], v[70:71], -v[44:45]
	s_waitcnt lgkmcnt(1)
	v_add_f64 v[185:186], v[201:202], v[58:59]
	v_add_f64 v[46:47], v[58:59], v[60:61]
	v_add_f64 v[189:190], v[58:59], -v[60:61]
	v_add_f64 v[70:71], v[156:157], v[28:29]
	v_add_f64 v[58:59], v[150:151], v[10:11]
	v_add_f64 v[183:184], v[10:11], -v[14:15]
	v_add_f64 v[187:188], v[10:11], v[14:15]
	v_add_f64 v[26:27], v[82:83], v[104:105]
	v_fma_f64 v[82:83], v[84:85], -0.5, v[166:167]
	v_fma_f64 v[84:85], v[88:89], -0.5, v[170:171]
	v_add_f64 v[30:31], v[92:93], v[191:192]
	v_fma_f64 v[88:89], v[94:95], -0.5, v[164:165]
	v_fma_f64 v[92:93], v[100:101], -0.5, v[168:169]
	;; [unrolled: 1-line block ×3, first 2 shown]
	v_add_f64 v[10:11], v[114:115], v[96:97]
	v_add_f64 v[114:115], v[52:53], v[12:13]
	;; [unrolled: 1-line block ×7, first 2 shown]
	v_fma_f64 v[62:63], v[62:63], -0.5, v[172:173]
	v_add_f64 v[100:101], v[52:53], -v[12:13]
	v_add_f64 v[8:9], v[36:37], v[32:33]
	v_add_f64 v[104:105], v[162:163], v[108:109]
	v_add_f64 v[108:109], v[108:109], -v[112:113]
	v_add_f64 v[158:159], v[146:147], v[52:53]
	s_waitcnt lgkmcnt(0)
	v_add_f64 v[168:169], v[205:206], v[54:55]
	v_add_f64 v[170:171], v[54:55], -v[102:103]
	v_add_f64 v[126:127], v[24:25], v[42:43]
	v_add_f64 v[138:139], v[24:25], -v[42:43]
	;; [unrolled: 2-line block ×3, first 2 shown]
	v_add_f64 v[172:173], v[144:145], v[2:3]
	v_add_f64 v[2:3], v[50:51], v[66:67]
	v_add_f64 v[0:1], v[68:69], v[48:49]
	v_add_f64 v[106:107], v[28:29], -v[40:41]
	v_add_f64 v[122:123], v[28:29], v[40:41]
	v_add_f64 v[28:29], v[38:39], v[34:35]
	;; [unrolled: 1-line block ×3, first 2 shown]
	v_add_f64 v[78:79], v[179:180], -v[66:67]
	v_add_f64 v[4:5], v[70:71], v[40:41]
	v_add_f64 v[40:41], v[58:59], v[14:15]
	v_fma_f64 v[154:155], v[64:65], -0.5, v[154:155]
	v_add_f64 v[132:133], v[18:19], -v[22:23]
	v_add_f64 v[136:137], v[18:19], v[22:23]
	v_add_f64 v[18:19], v[152:153], v[18:19]
	v_fma_f64 v[58:59], v[90:91], s[4:5], v[84:85]
	v_fma_f64 v[66:67], v[90:91], s[2:3], v[84:85]
	;; [unrolled: 1-line block ×6, first 2 shown]
	v_fma_f64 v[114:115], v[114:115], -0.5, v[146:147]
	v_fma_f64 v[48:49], v[118:119], s[4:5], v[94:95]
	v_fma_f64 v[110:111], v[96:97], -0.5, v[162:163]
	v_fma_f64 v[64:65], v[98:99], s[4:5], v[88:89]
	v_fma_f64 v[116:117], v[116:117], -0.5, v[205:206]
	v_fma_f64 v[118:119], v[164:165], -0.5, v[144:145]
	;; [unrolled: 1-line block ×4, first 2 shown]
	v_add_f64 v[34:35], v[134:135], v[42:43]
	v_fma_f64 v[134:135], v[140:141], -0.5, v[195:196]
	v_fma_f64 v[140:141], v[46:47], -0.5, v[201:202]
	v_add_f64 v[42:43], v[185:186], v[60:61]
	v_fma_f64 v[46:47], v[80:81], s[2:3], v[62:63]
	v_fma_f64 v[62:63], v[80:81], s[4:5], v[62:63]
	;; [unrolled: 1-line block ×3, first 2 shown]
	v_add_f64 v[6:7], v[120:121], v[44:45]
	v_fma_f64 v[44:45], v[86:87], s[4:5], v[82:83]
	global_store_b128 v[193:194], v[8:11], off
	v_add_f64 v[70:71], v[104:105], v[112:113]
	v_add_nc_u32_e32 v104, 0x168, v204
	s_clause 0x3
	global_store_b128 v[207:208], v[52:55], off
	global_store_b128 v[209:210], v[48:51], off
	;; [unrolled: 1-line block ×4, first 2 shown]
	v_fma_f64 v[28:29], v[108:109], s[4:5], v[114:115]
	v_fma_f64 v[30:31], v[100:101], s[2:3], v[110:111]
	;; [unrolled: 1-line block ×3, first 2 shown]
	v_mad_u64_u32 v[100:101], null, s12, v239, 0
	s_clause 0x1
	global_store_b128 v[130:131], v[64:67], off
	global_store_b128 v[213:214], v[24:27], off
	v_add_nc_u32_e32 v27, 0x384, v239
	v_mul_hi_u32 v66, 0x91a2b3c5, v104
	v_mov_b32_e32 v223, v228
	v_lshlrev_b64 v[24:25], 4, v[220:221]
	v_add_f64 v[179:180], v[16:17], v[20:21]
	v_mad_u64_u32 v[64:65], null, s12, v27, 0
	v_add_f64 v[74:75], v[168:169], v[102:103]
	v_add_f64 v[72:73], v[172:173], v[72:73]
	v_fma_f64 v[58:59], v[166:167], s[4:5], v[116:117]
	v_fma_f64 v[56:57], v[170:171], s[2:3], v[118:119]
	v_mov_b32_e32 v26, v101
	v_lshrrev_b32_e32 v105, 9, v66
	v_lshlrev_b64 v[66:67], 4, v[222:223]
	v_add_co_u32 v24, vcc_lo, v160, v24
	v_add_co_ci_u32_e32 v25, vcc_lo, v161, v25, vcc_lo
	v_mad_u64_u32 v[101:102], null, s13, v239, v[26:27]
	v_mov_b32_e32 v26, v65
	v_add_f64 v[32:33], v[18:19], v[22:23]
	v_fma_f64 v[18:19], v[106:107], s[2:3], v[197:198]
	v_fma_f64 v[22:23], v[106:107], s[4:5], v[197:198]
	v_mul_u32_u24_e32 v106, 0x384, v105
	v_add_co_u32 v65, vcc_lo, v160, v66
	v_add_co_ci_u32_e32 v66, vcc_lo, v161, v67, vcc_lo
	v_mad_u64_u32 v[102:103], null, s13, v27, v[26:27]
	s_delay_alu instid0(VALU_DEP_4)
	v_sub_nc_u32_e32 v26, v104, v106
	s_clause 0x1
	global_store_b128 v[24:25], v[60:63], off
	global_store_b128 v[65:66], v[44:47], off
	v_add_nc_u32_e32 v62, 0x708, v239
	v_fma_f64 v[54:55], v[166:167], s[2:3], v[116:117]
	v_fma_f64 v[52:53], v[170:171], s[4:5], v[118:119]
	v_add_nc_u32_e32 v67, 0x1c2, v204
	v_mad_u32_u24 v66, 0xa8c, v105, v26
	v_mad_u64_u32 v[26:27], null, s12, v62, 0
	v_mov_b32_e32 v65, v102
	s_delay_alu instid0(VALU_DEP_4) | instskip(NEXT) | instid1(VALU_DEP_4)
	v_mul_hi_u32 v63, 0x91a2b3c5, v67
	v_mad_u64_u32 v[44:45], null, s12, v66, 0
	v_lshlrev_b64 v[24:25], 4, v[100:101]
	s_delay_alu instid0(VALU_DEP_4)
	v_lshlrev_b64 v[46:47], 4, v[64:65]
	v_add_nc_u32_e32 v64, 0x384, v66
	v_mad_u64_u32 v[60:61], null, s13, v62, v[27:28]
	v_lshrrev_b32_e32 v65, 9, v63
	v_add_co_u32 v24, vcc_lo, v160, v24
	v_mad_u64_u32 v[61:62], null, s13, v66, v[45:46]
	v_add_co_ci_u32_e32 v25, vcc_lo, v161, v25, vcc_lo
	v_mad_u64_u32 v[62:63], null, s12, v64, 0
	v_add_co_u32 v46, vcc_lo, v160, v46
	v_add_co_ci_u32_e32 v47, vcc_lo, v161, v47, vcc_lo
	v_mul_u32_u24_e32 v100, 0x384, v65
	v_mov_b32_e32 v27, v60
	v_add_f64 v[68:69], v[158:159], v[12:13]
	v_fma_f64 v[48:49], v[108:109], s[2:3], v[114:115]
	v_add_f64 v[142:143], v[16:17], -v[20:21]
	v_add_f64 v[16:17], v[148:149], v[16:17]
	v_fma_f64 v[120:121], v[122:123], -0.5, v[156:157]
	v_fma_f64 v[122:123], v[126:127], -0.5, v[175:176]
	;; [unrolled: 1-line block ×5, first 2 shown]
	s_clause 0x1
	global_store_b128 v[24:25], v[72:75], off
	global_store_b128 v[46:47], v[56:59], off
	v_sub_nc_u32_e32 v46, v67, v100
	v_lshlrev_b64 v[24:25], 4, v[26:27]
	v_mov_b32_e32 v26, v63
	v_fma_f64 v[98:99], v[183:184], s[4:5], v[140:141]
	v_fma_f64 v[94:95], v[183:184], s[2:3], v[140:141]
	v_mad_u32_u24 v65, 0xa8c, v65, v46
	v_mov_b32_e32 v45, v61
	v_mad_u64_u32 v[46:47], null, s13, v64, v[26:27]
	v_add_co_u32 v24, vcc_lo, v160, v24
	v_add_nc_u32_e32 v61, 0x708, v66
	v_mad_u64_u32 v[56:57], null, s12, v65, 0
	v_add_co_ci_u32_e32 v25, vcc_lo, v161, v25, vcc_lo
	v_mov_b32_e32 v63, v46
	s_delay_alu instid0(VALU_DEP_4)
	v_mad_u64_u32 v[26:27], null, s12, v61, 0
	global_store_b128 v[24:25], v[52:55], off
	v_add_nc_u32_e32 v52, 0x708, v65
	v_lshlrev_b64 v[44:45], 4, v[44:45]
	v_mov_b32_e32 v46, v57
	v_lshlrev_b64 v[57:58], 4, v[62:63]
	v_add_nc_u32_e32 v64, 0x21c, v204
	v_mad_u64_u32 v[59:60], null, s13, v61, v[27:28]
	v_add_co_u32 v44, vcc_lo, v160, v44
	v_add_co_ci_u32_e32 v45, vcc_lo, v161, v45, vcc_lo
	v_mad_u64_u32 v[60:61], null, s13, v65, v[46:47]
	v_add_co_u32 v46, vcc_lo, v160, v57
	v_add_nc_u32_e32 v63, 0x384, v65
	v_add_co_ci_u32_e32 v47, vcc_lo, v161, v58, vcc_lo
	v_mul_hi_u32 v58, 0x91a2b3c5, v64
	v_mov_b32_e32 v27, v59
	s_delay_alu instid0(VALU_DEP_4)
	v_mad_u64_u32 v[61:62], null, s12, v63, 0
	s_clause 0x1
	global_store_b128 v[44:45], v[68:71], off
	global_store_b128 v[46:47], v[48:51], off
	v_fma_f64 v[96:97], v[189:190], s[2:3], v[148:149]
	v_lshlrev_b64 v[24:25], 4, v[26:27]
	v_lshrrev_b32_e32 v48, 9, v58
	v_dual_mov_b32 v57, v60 :: v_dual_mov_b32 v26, v62
	v_fma_f64 v[92:93], v[189:190], s[4:5], v[148:149]
	v_add_f64 v[36:37], v[16:17], v[20:21]
	s_delay_alu instid0(VALU_DEP_4) | instskip(NEXT) | instid1(VALU_DEP_4)
	v_mul_u32_u24_e32 v49, 0x384, v48
	v_lshlrev_b64 v[44:45], 4, v[56:57]
	v_mad_u64_u32 v[46:47], null, s13, v63, v[26:27]
	v_mad_u64_u32 v[26:27], null, s12, v52, 0
	s_delay_alu instid0(VALU_DEP_4) | instskip(SKIP_2) | instid1(VALU_DEP_3)
	v_sub_nc_u32_e32 v47, v64, v49
	v_add_co_u32 v24, vcc_lo, v160, v24
	v_add_co_ci_u32_e32 v25, vcc_lo, v161, v25, vcc_lo
	v_mad_u32_u24 v55, 0xa8c, v48, v47
	v_mov_b32_e32 v62, v46
	v_mad_u64_u32 v[50:51], null, s13, v52, v[27:28]
	v_add_co_u32 v44, vcc_lo, v160, v44
	s_delay_alu instid0(VALU_DEP_4) | instskip(SKIP_4) | instid1(VALU_DEP_4)
	v_mad_u64_u32 v[48:49], null, s12, v55, 0
	v_add_nc_u32_e32 v56, 0x384, v55
	v_lshlrev_b64 v[46:47], 4, v[61:62]
	v_add_co_ci_u32_e32 v45, vcc_lo, v161, v45, vcc_lo
	v_fma_f64 v[90:91], v[142:143], s[4:5], v[134:135]
	v_mad_u64_u32 v[51:52], null, s12, v56, 0
	v_mov_b32_e32 v27, v49
	v_add_co_u32 v46, vcc_lo, v160, v46
	v_add_co_ci_u32_e32 v47, vcc_lo, v161, v47, vcc_lo
	s_delay_alu instid0(VALU_DEP_3)
	v_mad_u64_u32 v[53:54], null, s13, v55, v[27:28]
	v_mov_b32_e32 v27, v50
	s_clause 0x2
	global_store_b128 v[24:25], v[28:31], off
	global_store_b128 v[44:45], v[40:43], off
	;; [unrolled: 1-line block ×3, first 2 shown]
	v_add_nc_u32_e32 v46, 0x708, v55
	v_fma_f64 v[88:89], v[181:182], s[2:3], v[136:137]
	v_fma_f64 v[86:87], v[142:143], s[2:3], v[134:135]
	v_lshlrev_b64 v[24:25], 4, v[26:27]
	v_mov_b32_e32 v26, v52
	v_fma_f64 v[84:85], v[181:182], s[4:5], v[136:137]
	v_fma_f64 v[82:83], v[132:133], s[4:5], v[122:123]
	;; [unrolled: 1-line block ×4, first 2 shown]
	v_mad_u64_u32 v[27:28], null, s13, v56, v[26:27]
	v_mad_u64_u32 v[28:29], null, s12, v46, 0
	v_add_nc_u32_e32 v57, 0x276, v204
	v_add_co_u32 v24, vcc_lo, v160, v24
	v_add_co_ci_u32_e32 v25, vcc_lo, v161, v25, vcc_lo
	s_delay_alu instid0(VALU_DEP_3)
	v_mul_hi_u32 v49, 0x91a2b3c5, v57
	v_mov_b32_e32 v52, v27
	v_fma_f64 v[14:15], v[76:77], s[4:5], v[191:192]
	v_fma_f64 v[8:9], v[78:79], s[4:5], v[154:155]
	;; [unrolled: 1-line block ×4, first 2 shown]
	v_lshlrev_b64 v[42:43], 4, v[51:52]
	v_fma_f64 v[76:77], v[138:139], s[4:5], v[126:127]
	v_lshrrev_b32_e32 v30, 9, v49
	v_fma_f64 v[20:21], v[124:125], s[2:3], v[120:121]
	v_fma_f64 v[16:17], v[124:125], s[4:5], v[120:121]
	s_delay_alu instid0(VALU_DEP_3) | instskip(NEXT) | instid1(VALU_DEP_1)
	v_mul_u32_u24_e32 v31, 0x384, v30
	v_sub_nc_u32_e32 v26, v57, v31
	s_delay_alu instid0(VALU_DEP_1) | instskip(SKIP_2) | instid1(VALU_DEP_3)
	v_mad_u32_u24 v47, 0xa8c, v30, v26
	v_mov_b32_e32 v26, v29
	v_mov_b32_e32 v49, v53
	v_mad_u64_u32 v[40:41], null, s12, v47, 0
	s_delay_alu instid0(VALU_DEP_2) | instskip(SKIP_2) | instid1(VALU_DEP_3)
	v_lshlrev_b64 v[30:31], 4, v[48:49]
	v_add_nc_u32_e32 v48, 0x2d0, v204
	v_mad_u64_u32 v[44:45], null, s13, v46, v[26:27]
	v_add_co_u32 v30, vcc_lo, v160, v30
	s_delay_alu instid0(VALU_DEP_3)
	v_mul_hi_u32 v27, 0x91a2b3c5, v48
	v_add_co_ci_u32_e32 v31, vcc_lo, v161, v31, vcc_lo
	v_mov_b32_e32 v26, v41
	v_add_co_u32 v41, vcc_lo, v160, v42
	v_add_co_ci_u32_e32 v42, vcc_lo, v161, v43, vcc_lo
	s_clause 0x2
	global_store_b128 v[24:25], v[92:95], off
	global_store_b128 v[30:31], v[36:39], off
	;; [unrolled: 1-line block ×3, first 2 shown]
	v_add_nc_u32_e32 v38, 0x384, v47
	v_lshrrev_b32_e32 v36, 9, v27
	v_mad_u64_u32 v[45:46], null, s13, v47, v[26:27]
	v_mov_b32_e32 v29, v44
	v_add_nc_u32_e32 v39, 0x708, v47
	s_delay_alu instid0(VALU_DEP_4) | instskip(SKIP_1) | instid1(VALU_DEP_4)
	v_mul_u32_u24_e32 v30, 0x384, v36
	v_mad_u64_u32 v[26:27], null, s12, v38, 0
	v_lshlrev_b64 v[24:25], 4, v[28:29]
	s_delay_alu instid0(VALU_DEP_4) | instskip(SKIP_2) | instid1(VALU_DEP_4)
	v_mad_u64_u32 v[28:29], null, s12, v39, 0
	v_mov_b32_e32 v41, v45
	v_sub_nc_u32_e32 v37, v48, v30
	v_add_co_u32 v24, vcc_lo, v160, v24
	s_delay_alu instid0(VALU_DEP_3) | instskip(NEXT) | instid1(VALU_DEP_3)
	v_lshlrev_b64 v[30:31], 4, v[40:41]
	v_mad_u32_u24 v40, 0xa8c, v36, v37
	v_mad_u64_u32 v[36:37], null, s13, v38, v[27:28]
	v_add_nc_u32_e32 v41, 0x32a, v204
	v_add_co_ci_u32_e32 v25, vcc_lo, v161, v25, vcc_lo
	v_mad_u64_u32 v[37:38], null, s13, v39, v[29:30]
	v_mad_u64_u32 v[38:39], null, s12, v40, 0
	v_mov_b32_e32 v27, v36
	v_add_co_u32 v30, vcc_lo, v160, v30
	v_mul_hi_u32 v36, 0x91a2b3c5, v41
	global_store_b128 v[24:25], v[84:87], off
	v_lshlrev_b64 v[25:26], 4, v[26:27]
	v_add_co_ci_u32_e32 v31, vcc_lo, v161, v31, vcc_lo
	v_dual_mov_b32 v29, v37 :: v_dual_mov_b32 v24, v39
	global_store_b128 v[30:31], v[32:35], off
	v_add_nc_u32_e32 v34, 0x384, v40
	v_lshlrev_b64 v[27:28], 4, v[28:29]
	v_mad_u64_u32 v[29:30], null, s13, v40, v[24:25]
	v_lshrrev_b32_e32 v30, 9, v36
	v_add_co_u32 v24, vcc_lo, v160, v25
	v_add_co_ci_u32_e32 v25, vcc_lo, v161, v26, vcc_lo
	s_delay_alu instid0(VALU_DEP_3)
	v_mul_u32_u24_e32 v31, 0x384, v30
	v_mov_b32_e32 v39, v29
	v_add_co_u32 v26, vcc_lo, v160, v27
	global_store_b128 v[24:25], v[80:83], off
	v_sub_nc_u32_e32 v31, v41, v31
	v_lshlrev_b64 v[24:25], 4, v[38:39]
	v_add_co_ci_u32_e32 v27, vcc_lo, v161, v28, vcc_lo
	v_mad_u64_u32 v[28:29], null, s12, v34, 0
	s_delay_alu instid0(VALU_DEP_4)
	v_mad_u32_u24 v38, 0xa8c, v30, v31
	v_add_nc_u32_e32 v35, 0x708, v40
	global_store_b128 v[26:27], v[76:79], off
	v_add_co_u32 v24, vcc_lo, v160, v24
	v_mad_u64_u32 v[30:31], null, s12, v38, 0
	v_mad_u64_u32 v[26:27], null, s12, v35, 0
	v_add_nc_u32_e32 v39, 0x384, v38
	v_add_nc_u32_e32 v40, 0x708, v38
	v_add_co_ci_u32_e32 v25, vcc_lo, v161, v25, vcc_lo
	v_mad_u64_u32 v[32:33], null, s13, v34, v[29:30]
	v_mad_u64_u32 v[33:34], null, s13, v35, v[27:28]
	v_mov_b32_e32 v27, v31
	v_mad_u64_u32 v[34:35], null, s12, v39, 0
	global_store_b128 v[24:25], v[4:7], off
	v_mov_b32_e32 v29, v32
	v_mad_u64_u32 v[36:37], null, s13, v38, v[27:28]
	v_mad_u64_u32 v[37:38], null, s12, v40, 0
	s_delay_alu instid0(VALU_DEP_3) | instskip(SKIP_1) | instid1(VALU_DEP_4)
	v_lshlrev_b64 v[5:6], 4, v[28:29]
	v_dual_mov_b32 v4, v35 :: v_dual_mov_b32 v27, v33
	v_mov_b32_e32 v31, v36
	s_delay_alu instid0(VALU_DEP_2) | instskip(SKIP_4) | instid1(VALU_DEP_3)
	v_mad_u64_u32 v[24:25], null, s13, v39, v[4:5]
	v_mov_b32_e32 v4, v38
	v_add_co_u32 v5, vcc_lo, v160, v5
	v_lshlrev_b64 v[25:26], 4, v[26:27]
	v_add_co_ci_u32_e32 v6, vcc_lo, v161, v6, vcc_lo
	v_mad_u64_u32 v[27:28], null, s13, v40, v[4:5]
	v_lshlrev_b64 v[28:29], 4, v[30:31]
	v_mov_b32_e32 v35, v24
	v_add_co_u32 v24, vcc_lo, v160, v25
	v_add_co_ci_u32_e32 v25, vcc_lo, v161, v26, vcc_lo
	v_mov_b32_e32 v38, v27
	s_delay_alu instid0(VALU_DEP_4) | instskip(SKIP_2) | instid1(VALU_DEP_4)
	v_lshlrev_b64 v[30:31], 4, v[34:35]
	v_add_co_u32 v26, vcc_lo, v160, v28
	v_add_co_ci_u32_e32 v27, vcc_lo, v161, v29, vcc_lo
	v_lshlrev_b64 v[28:29], 4, v[37:38]
	s_delay_alu instid0(VALU_DEP_4) | instskip(SKIP_1) | instid1(VALU_DEP_3)
	v_add_co_u32 v30, vcc_lo, v160, v30
	v_add_co_ci_u32_e32 v31, vcc_lo, v161, v31, vcc_lo
	v_add_co_u32 v28, vcc_lo, v160, v28
	s_delay_alu instid0(VALU_DEP_4)
	v_add_co_ci_u32_e32 v29, vcc_lo, v161, v29, vcc_lo
	s_clause 0x4
	global_store_b128 v[5:6], v[20:23], off
	global_store_b128 v[24:25], v[16:19], off
	;; [unrolled: 1-line block ×5, first 2 shown]
.LBB0_15:
	s_nop 0
	s_sendmsg sendmsg(MSG_DEALLOC_VGPRS)
	s_endpgm
	.section	.rodata,"a",@progbits
	.p2align	6, 0x0
	.amdhsa_kernel fft_rtc_back_len2700_factors_3_10_10_3_3_wgs_90_tpt_90_halfLds_dp_op_CI_CI_sbrr_dirReg
		.amdhsa_group_segment_fixed_size 0
		.amdhsa_private_segment_fixed_size 36
		.amdhsa_kernarg_size 104
		.amdhsa_user_sgpr_count 15
		.amdhsa_user_sgpr_dispatch_ptr 0
		.amdhsa_user_sgpr_queue_ptr 0
		.amdhsa_user_sgpr_kernarg_segment_ptr 1
		.amdhsa_user_sgpr_dispatch_id 0
		.amdhsa_user_sgpr_private_segment_size 0
		.amdhsa_wavefront_size32 1
		.amdhsa_uses_dynamic_stack 0
		.amdhsa_enable_private_segment 1
		.amdhsa_system_sgpr_workgroup_id_x 1
		.amdhsa_system_sgpr_workgroup_id_y 0
		.amdhsa_system_sgpr_workgroup_id_z 0
		.amdhsa_system_sgpr_workgroup_info 0
		.amdhsa_system_vgpr_workitem_id 0
		.amdhsa_next_free_vgpr 256
		.amdhsa_next_free_sgpr 31
		.amdhsa_reserve_vcc 1
		.amdhsa_float_round_mode_32 0
		.amdhsa_float_round_mode_16_64 0
		.amdhsa_float_denorm_mode_32 3
		.amdhsa_float_denorm_mode_16_64 3
		.amdhsa_dx10_clamp 1
		.amdhsa_ieee_mode 1
		.amdhsa_fp16_overflow 0
		.amdhsa_workgroup_processor_mode 1
		.amdhsa_memory_ordered 1
		.amdhsa_forward_progress 0
		.amdhsa_shared_vgpr_count 0
		.amdhsa_exception_fp_ieee_invalid_op 0
		.amdhsa_exception_fp_denorm_src 0
		.amdhsa_exception_fp_ieee_div_zero 0
		.amdhsa_exception_fp_ieee_overflow 0
		.amdhsa_exception_fp_ieee_underflow 0
		.amdhsa_exception_fp_ieee_inexact 0
		.amdhsa_exception_int_div_zero 0
	.end_amdhsa_kernel
	.text
.Lfunc_end0:
	.size	fft_rtc_back_len2700_factors_3_10_10_3_3_wgs_90_tpt_90_halfLds_dp_op_CI_CI_sbrr_dirReg, .Lfunc_end0-fft_rtc_back_len2700_factors_3_10_10_3_3_wgs_90_tpt_90_halfLds_dp_op_CI_CI_sbrr_dirReg
                                        ; -- End function
	.section	.AMDGPU.csdata,"",@progbits
; Kernel info:
; codeLenInByte = 26220
; NumSgprs: 33
; NumVgprs: 256
; ScratchSize: 36
; MemoryBound: 1
; FloatMode: 240
; IeeeMode: 1
; LDSByteSize: 0 bytes/workgroup (compile time only)
; SGPRBlocks: 4
; VGPRBlocks: 31
; NumSGPRsForWavesPerEU: 33
; NumVGPRsForWavesPerEU: 256
; Occupancy: 5
; WaveLimiterHint : 1
; COMPUTE_PGM_RSRC2:SCRATCH_EN: 1
; COMPUTE_PGM_RSRC2:USER_SGPR: 15
; COMPUTE_PGM_RSRC2:TRAP_HANDLER: 0
; COMPUTE_PGM_RSRC2:TGID_X_EN: 1
; COMPUTE_PGM_RSRC2:TGID_Y_EN: 0
; COMPUTE_PGM_RSRC2:TGID_Z_EN: 0
; COMPUTE_PGM_RSRC2:TIDIG_COMP_CNT: 0
	.text
	.p2alignl 7, 3214868480
	.fill 96, 4, 3214868480
	.type	__hip_cuid_1408a6c332abc5ea,@object ; @__hip_cuid_1408a6c332abc5ea
	.section	.bss,"aw",@nobits
	.globl	__hip_cuid_1408a6c332abc5ea
__hip_cuid_1408a6c332abc5ea:
	.byte	0                               ; 0x0
	.size	__hip_cuid_1408a6c332abc5ea, 1

	.ident	"AMD clang version 19.0.0git (https://github.com/RadeonOpenCompute/llvm-project roc-6.4.0 25133 c7fe45cf4b819c5991fe208aaa96edf142730f1d)"
	.section	".note.GNU-stack","",@progbits
	.addrsig
	.addrsig_sym __hip_cuid_1408a6c332abc5ea
	.amdgpu_metadata
---
amdhsa.kernels:
  - .args:
      - .actual_access:  read_only
        .address_space:  global
        .offset:         0
        .size:           8
        .value_kind:     global_buffer
      - .offset:         8
        .size:           8
        .value_kind:     by_value
      - .actual_access:  read_only
        .address_space:  global
        .offset:         16
        .size:           8
        .value_kind:     global_buffer
      - .actual_access:  read_only
        .address_space:  global
        .offset:         24
        .size:           8
        .value_kind:     global_buffer
      - .actual_access:  read_only
        .address_space:  global
        .offset:         32
        .size:           8
        .value_kind:     global_buffer
      - .offset:         40
        .size:           8
        .value_kind:     by_value
      - .actual_access:  read_only
        .address_space:  global
        .offset:         48
        .size:           8
        .value_kind:     global_buffer
      - .actual_access:  read_only
        .address_space:  global
        .offset:         56
        .size:           8
        .value_kind:     global_buffer
      - .offset:         64
        .size:           4
        .value_kind:     by_value
      - .actual_access:  read_only
        .address_space:  global
        .offset:         72
        .size:           8
        .value_kind:     global_buffer
      - .actual_access:  read_only
        .address_space:  global
        .offset:         80
        .size:           8
        .value_kind:     global_buffer
      - .actual_access:  read_only
        .address_space:  global
        .offset:         88
        .size:           8
        .value_kind:     global_buffer
      - .actual_access:  write_only
        .address_space:  global
        .offset:         96
        .size:           8
        .value_kind:     global_buffer
    .group_segment_fixed_size: 0
    .kernarg_segment_align: 8
    .kernarg_segment_size: 104
    .language:       OpenCL C
    .language_version:
      - 2
      - 0
    .max_flat_workgroup_size: 90
    .name:           fft_rtc_back_len2700_factors_3_10_10_3_3_wgs_90_tpt_90_halfLds_dp_op_CI_CI_sbrr_dirReg
    .private_segment_fixed_size: 36
    .sgpr_count:     33
    .sgpr_spill_count: 0
    .symbol:         fft_rtc_back_len2700_factors_3_10_10_3_3_wgs_90_tpt_90_halfLds_dp_op_CI_CI_sbrr_dirReg.kd
    .uniform_work_group_size: 1
    .uses_dynamic_stack: false
    .vgpr_count:     256
    .vgpr_spill_count: 8
    .wavefront_size: 32
    .workgroup_processor_mode: 1
amdhsa.target:   amdgcn-amd-amdhsa--gfx1100
amdhsa.version:
  - 1
  - 2
...

	.end_amdgpu_metadata
